;; amdgpu-corpus repo=ROCm/rocFFT kind=compiled arch=gfx906 opt=O3
	.text
	.amdgcn_target "amdgcn-amd-amdhsa--gfx906"
	.amdhsa_code_object_version 6
	.protected	bluestein_single_fwd_len51_dim1_dp_op_CI_CI ; -- Begin function bluestein_single_fwd_len51_dim1_dp_op_CI_CI
	.globl	bluestein_single_fwd_len51_dim1_dp_op_CI_CI
	.p2align	8
	.type	bluestein_single_fwd_len51_dim1_dp_op_CI_CI,@function
bluestein_single_fwd_len51_dim1_dp_op_CI_CI: ; @bluestein_single_fwd_len51_dim1_dp_op_CI_CI
; %bb.0:
	v_mul_u32_u24_e32 v1, 0xf10, v0
	s_load_dwordx4 s[0:3], s[4:5], 0x28
	v_lshrrev_b32_e32 v1, 16, v1
	v_mad_u64_u32 v[124:125], s[6:7], s6, 15, v[1:2]
	v_mov_b32_e32 v125, 0
	s_waitcnt lgkmcnt(0)
	v_cmp_gt_u64_e32 vcc, s[0:1], v[124:125]
	s_and_saveexec_b64 s[0:1], vcc
	s_cbranch_execz .LBB0_15
; %bb.1:
	s_mov_b32 s0, 0x88888889
	v_mul_hi_u32 v2, v124, s0
	s_load_dwordx2 s[6:7], s[4:5], 0x0
	s_load_dwordx2 s[12:13], s[4:5], 0x38
	v_mul_lo_u16_e32 v1, 17, v1
	v_sub_u16_e32 v234, v0, v1
	v_lshrrev_b32_e32 v2, 3, v2
	v_mul_lo_u32 v2, v2, 15
	v_cmp_gt_u16_e32 vcc, 3, v234
	v_lshlrev_b32_e32 v230, 4, v234
	v_or_b32_e32 v233, 12, v234
	v_sub_u32_e32 v0, v124, v2
	v_mul_u32_u24_e32 v235, 51, v0
	v_lshlrev_b32_e32 v236, 4, v235
	v_or_b32_e32 v232, 24, v234
	v_or_b32_e32 v231, 36, v234
	;; [unrolled: 1-line block ×3, first 2 shown]
	s_and_saveexec_b64 s[14:15], vcc
	s_cbranch_execz .LBB0_3
; %bb.2:
	s_load_dwordx2 s[0:1], s[4:5], 0x18
	s_waitcnt lgkmcnt(0)
	s_load_dwordx4 s[8:11], s[0:1], 0x0
	s_waitcnt lgkmcnt(0)
	v_mad_u64_u32 v[0:1], s[0:1], s10, v124, 0
	v_mad_u64_u32 v[2:3], s[0:1], s8, v234, 0
	s_mul_i32 s16, s9, 0x60
	s_mul_hi_u32 s17, s8, 0x60
	v_mad_u64_u32 v[4:5], s[0:1], s11, v124, v[1:2]
	s_mul_hi_u32 s11, s8, 48
	s_mul_i32 s10, s8, 0x60
	v_mad_u64_u32 v[5:6], s[0:1], s9, v234, v[3:4]
	v_mov_b32_e32 v1, v4
	v_lshlrev_b64 v[0:1], 4, v[0:1]
	v_mov_b32_e32 v3, v5
	v_mov_b32_e32 v6, s3
	v_lshlrev_b64 v[2:3], 4, v[2:3]
	v_add_co_u32_e64 v32, s[0:1], s2, v0
	v_addc_co_u32_e64 v33, s[0:1], v6, v1, s[0:1]
	v_add_co_u32_e64 v38, s[0:1], v32, v2
	v_addc_co_u32_e64 v39, s[0:1], v33, v3, s[0:1]
	v_mad_u64_u32 v[40:41], s[0:1], s8, v233, 0
	v_mad_u64_u32 v[42:43], s[0:1], s8, v232, 0
	s_mul_i32 s3, s9, 48
	s_mul_i32 s2, s8, 48
	v_mad_u64_u32 v[44:45], s[0:1], s9, v233, v[41:42]
	s_add_i32 s3, s11, s3
	v_mov_b32_e32 v49, s3
	v_mad_u64_u32 v[45:46], s[0:1], s9, v232, v[43:44]
	v_mov_b32_e32 v41, v44
	v_lshlrev_b64 v[40:41], 4, v[40:41]
	v_mov_b32_e32 v43, v45
	v_lshlrev_b64 v[42:43], 4, v[42:43]
	v_add_co_u32_e64 v62, s[0:1], v32, v40
	v_addc_co_u32_e64 v63, s[0:1], v33, v41, s[0:1]
	v_add_co_u32_e64 v46, s[0:1], v32, v42
	v_addc_co_u32_e64 v47, s[0:1], v33, v43, s[0:1]
	;; [unrolled: 2-line block ×3, first 2 shown]
	v_mov_b32_e32 v50, s3
	v_add_co_u32_e64 v54, s[0:1], s2, v48
	v_addc_co_u32_e64 v55, s[0:1], v49, v50, s[0:1]
	v_mov_b32_e32 v51, s3
	v_add_co_u32_e64 v56, s[0:1], s2, v54
	s_add_i32 s11, s17, s16
	v_addc_co_u32_e64 v57, s[0:1], v55, v51, s[0:1]
	v_mov_b32_e32 v58, s11
	v_add_co_u32_e64 v64, s[0:1], s10, v56
	v_addc_co_u32_e64 v65, s[0:1], v57, v58, s[0:1]
	global_load_dwordx4 v[0:3], v[38:39], off
	global_load_dwordx4 v[4:7], v230, s[6:7]
	global_load_dwordx4 v[8:11], v230, s[6:7] offset:48
	global_load_dwordx4 v[12:15], v230, s[6:7] offset:96
	;; [unrolled: 1-line block ×7, first 2 shown]
	v_mov_b32_e32 v67, s3
	v_add_co_u32_e64 v66, s[0:1], s2, v64
	global_load_dwordx4 v[38:41], v[46:47], off
	global_load_dwordx4 v[42:45], v[48:49], off
	v_addc_co_u32_e64 v67, s[0:1], v65, v67, s[0:1]
	v_mov_b32_e32 v68, s3
	v_add_co_u32_e64 v70, s[0:1], s2, v66
	v_addc_co_u32_e64 v71, s[0:1], v67, v68, s[0:1]
	v_mov_b32_e32 v72, s11
	v_add_co_u32_e64 v82, s[0:1], s10, v70
	;; [unrolled: 3-line block ×3, first 2 shown]
	v_addc_co_u32_e64 v87, s[0:1], v83, v84, s[0:1]
	v_mad_u64_u32 v[98:99], s[0:1], s8, v231, 0
	global_load_dwordx4 v[46:49], v[54:55], off
	global_load_dwordx4 v[50:53], v[56:57], off
	s_nop 0
	global_load_dwordx4 v[54:57], v[62:63], off
	global_load_dwordx4 v[58:61], v[64:65], off
	v_mov_b32_e32 v88, s3
	global_load_dwordx4 v[62:65], v[66:67], off
	v_add_co_u32_e64 v102, s[0:1], s2, v86
	global_load_dwordx4 v[66:69], v[70:71], off
	s_nop 0
	global_load_dwordx4 v[70:73], v[82:83], off
	global_load_dwordx4 v[74:77], v230, s[6:7] offset:384
	global_load_dwordx4 v[78:81], v230, s[6:7] offset:432
	v_addc_co_u32_e64 v103, s[0:1], v87, v88, s[0:1]
	global_load_dwordx4 v[82:85], v[86:87], off
	v_mov_b32_e32 v86, v99
	v_mad_u64_u32 v[99:100], s[0:1], s9, v231, v[86:87]
	v_mov_b32_e32 v104, s11
	v_mov_b32_e32 v116, s3
	v_lshlrev_b64 v[98:99], 4, v[98:99]
	global_load_dwordx4 v[86:89], v[102:103], off
	global_load_dwordx4 v[90:93], v230, s[6:7] offset:480
	global_load_dwordx4 v[94:97], v230, s[6:7] offset:528
	v_add_co_u32_e64 v98, s[0:1], v32, v98
	v_addc_co_u32_e64 v99, s[0:1], v33, v99, s[0:1]
	v_add_co_u32_e64 v114, s[0:1], s10, v102
	v_addc_co_u32_e64 v115, s[0:1], v103, v104, s[0:1]
	;; [unrolled: 2-line block ×3, first 2 shown]
	v_mad_u64_u32 v[133:134], s[0:1], s8, v229, 0
	global_load_dwordx4 v[98:101], v[98:99], off
	s_nop 0
	global_load_dwordx4 v[102:105], v[114:115], off
	global_load_dwordx4 v[106:109], v230, s[6:7] offset:576
	global_load_dwordx4 v[110:113], v230, s[6:7] offset:624
	v_mov_b32_e32 v120, s3
	global_load_dwordx4 v[114:117], v[118:119], off
	v_add_co_u32_e64 v118, s[0:1], s2, v118
	v_addc_co_u32_e64 v119, s[0:1], v119, v120, s[0:1]
	v_mov_b32_e32 v120, v134
	v_mad_u64_u32 v[134:135], s[0:1], s9, v229, v[120:121]
	global_load_dwordx4 v[118:121], v[118:119], off
	s_nop 0
	global_load_dwordx4 v[125:128], v230, s[6:7] offset:672
	global_load_dwordx4 v[129:132], v230, s[6:7] offset:720
	v_lshlrev_b64 v[133:134], 4, v[133:134]
	v_add_co_u32_e64 v32, s[0:1], v32, v133
	v_addc_co_u32_e64 v33, s[0:1], v33, v134, s[0:1]
	global_load_dwordx4 v[133:136], v[32:33], off
	global_load_dwordx4 v[137:140], v230, s[6:7] offset:768
	s_waitcnt vmcnt(32)
	v_mul_f64 v[122:123], v[2:3], v[6:7]
	v_mul_f64 v[6:7], v[0:1], v[6:7]
	v_fma_f64 v[0:1], v[0:1], v[4:5], v[122:123]
	v_fma_f64 v[2:3], v[2:3], v[4:5], -v[6:7]
	s_waitcnt vmcnt(23)
	v_mul_f64 v[4:5], v[44:45], v[10:11]
	v_lshl_add_u32 v6, v234, 4, v236
	ds_write_b128 v6, v[0:3]
	v_fma_f64 v[0:1], v[42:43], v[8:9], v[4:5]
	v_mul_f64 v[2:3], v[42:43], v[10:11]
	v_add_u32_e32 v42, v236, v230
	s_waitcnt vmcnt(22)
	v_mul_f64 v[4:5], v[48:49], v[14:15]
	v_mul_f64 v[6:7], v[46:47], v[14:15]
	s_waitcnt vmcnt(21)
	v_mul_f64 v[10:11], v[52:53], v[18:19]
	v_mul_f64 v[14:15], v[50:51], v[18:19]
	s_waitcnt vmcnt(20)
	v_mul_f64 v[18:19], v[56:57], v[22:23]
	v_mul_f64 v[22:23], v[54:55], v[22:23]
	v_fma_f64 v[2:3], v[44:45], v[8:9], -v[2:3]
	s_waitcnt vmcnt(15)
	v_mul_f64 v[32:33], v[40:41], v[76:77]
	v_fma_f64 v[4:5], v[46:47], v[12:13], v[4:5]
	v_fma_f64 v[6:7], v[48:49], v[12:13], -v[6:7]
	v_fma_f64 v[8:9], v[50:51], v[16:17], v[10:11]
	v_fma_f64 v[10:11], v[52:53], v[16:17], -v[14:15]
	v_fma_f64 v[12:13], v[54:55], v[20:21], v[18:19]
	v_mul_f64 v[16:17], v[60:61], v[26:27]
	v_mul_f64 v[18:19], v[58:59], v[26:27]
	v_fma_f64 v[14:15], v[56:57], v[20:21], -v[22:23]
	v_mul_f64 v[20:21], v[64:65], v[30:31]
	v_mul_f64 v[22:23], v[62:63], v[30:31]
	;; [unrolled: 1-line block ×5, first 2 shown]
	v_fma_f64 v[16:17], v[58:59], v[24:25], v[16:17]
	v_fma_f64 v[18:19], v[60:61], v[24:25], -v[18:19]
	v_fma_f64 v[20:21], v[62:63], v[28:29], v[20:21]
	v_fma_f64 v[22:23], v[64:65], v[28:29], -v[22:23]
	;; [unrolled: 2-line block ×4, first 2 shown]
	ds_write_b128 v42, v[0:3] offset:48
	ds_write_b128 v42, v[4:7] offset:96
	;; [unrolled: 1-line block ×8, first 2 shown]
	s_waitcnt vmcnt(14)
	v_mul_f64 v[0:1], v[72:73], v[80:81]
	v_mul_f64 v[2:3], v[70:71], v[80:81]
	s_waitcnt vmcnt(11)
	v_mul_f64 v[4:5], v[84:85], v[92:93]
	v_mul_f64 v[6:7], v[82:83], v[92:93]
	;; [unrolled: 3-line block ×5, first 2 shown]
	v_fma_f64 v[0:1], v[70:71], v[78:79], v[0:1]
	v_fma_f64 v[2:3], v[72:73], v[78:79], -v[2:3]
	s_waitcnt vmcnt(3)
	v_mul_f64 v[20:21], v[116:117], v[127:128]
	v_mul_f64 v[22:23], v[114:115], v[127:128]
	s_waitcnt vmcnt(2)
	v_mul_f64 v[24:25], v[120:121], v[131:132]
	v_mul_f64 v[26:27], v[118:119], v[131:132]
	v_fma_f64 v[4:5], v[82:83], v[90:91], v[4:5]
	v_fma_f64 v[6:7], v[84:85], v[90:91], -v[6:7]
	v_fma_f64 v[8:9], v[86:87], v[94:95], v[8:9]
	v_fma_f64 v[10:11], v[88:89], v[94:95], -v[10:11]
	v_fma_f64 v[12:13], v[98:99], v[106:107], v[12:13]
	s_waitcnt vmcnt(0)
	v_mul_f64 v[28:29], v[135:136], v[139:140]
	v_mul_f64 v[30:31], v[133:134], v[139:140]
	v_fma_f64 v[14:15], v[100:101], v[106:107], -v[14:15]
	v_fma_f64 v[16:17], v[102:103], v[110:111], v[16:17]
	v_fma_f64 v[18:19], v[104:105], v[110:111], -v[18:19]
	v_fma_f64 v[20:21], v[114:115], v[125:126], v[20:21]
	;; [unrolled: 2-line block ×4, first 2 shown]
	v_fma_f64 v[30:31], v[135:136], v[137:138], -v[30:31]
	ds_write_b128 v42, v[0:3] offset:432
	ds_write_b128 v42, v[4:7] offset:480
	ds_write_b128 v42, v[8:11] offset:528
	ds_write_b128 v42, v[12:15] offset:576
	ds_write_b128 v42, v[16:19] offset:624
	ds_write_b128 v42, v[20:23] offset:672
	ds_write_b128 v42, v[24:27] offset:720
	ds_write_b128 v42, v[28:31] offset:768
.LBB0_3:
	s_or_b64 exec, exec, s[14:15]
	s_load_dwordx2 s[0:1], s[4:5], 0x20
	s_load_dwordx2 s[8:9], s[4:5], 0x8
	s_waitcnt lgkmcnt(0)
	s_barrier
	s_waitcnt lgkmcnt(0)
                                        ; implicit-def: $vgpr54_vgpr55
                                        ; implicit-def: $vgpr50_vgpr51
                                        ; implicit-def: $vgpr46_vgpr47
                                        ; implicit-def: $vgpr42_vgpr43
                                        ; implicit-def: $vgpr38_vgpr39
                                        ; implicit-def: $vgpr34_vgpr35
                                        ; implicit-def: $vgpr30_vgpr31
                                        ; implicit-def: $vgpr26_vgpr27
                                        ; implicit-def: $vgpr22_vgpr23
                                        ; implicit-def: $vgpr18_vgpr19
                                        ; implicit-def: $vgpr14_vgpr15
                                        ; implicit-def: $vgpr10_vgpr11
                                        ; implicit-def: $vgpr2_vgpr3
                                        ; implicit-def: $vgpr56_vgpr57
                                        ; implicit-def: $vgpr60_vgpr61
                                        ; implicit-def: $vgpr64_vgpr65
                                        ; implicit-def: $vgpr68_vgpr69
	s_and_saveexec_b64 s[2:3], vcc
	s_cbranch_execz .LBB0_5
; %bb.4:
	v_lshl_add_u32 v4, v235, 4, v230
	ds_read_b128 v[0:3], v4
	ds_read_b128 v[8:11], v4 offset:48
	ds_read_b128 v[12:15], v4 offset:96
	ds_read_b128 v[16:19], v4 offset:144
	ds_read_b128 v[20:23], v4 offset:192
	ds_read_b128 v[24:27], v4 offset:240
	ds_read_b128 v[28:31], v4 offset:288
	ds_read_b128 v[32:35], v4 offset:336
	ds_read_b128 v[36:39], v4 offset:384
	ds_read_b128 v[40:43], v4 offset:432
	ds_read_b128 v[44:47], v4 offset:480
	ds_read_b128 v[48:51], v4 offset:528
	ds_read_b128 v[52:55], v4 offset:576
	ds_read_b128 v[56:59], v4 offset:624
	ds_read_b128 v[60:63], v4 offset:672
	ds_read_b128 v[64:67], v4 offset:720
	ds_read_b128 v[68:71], v4 offset:768
.LBB0_5:
	s_or_b64 exec, exec, s[2:3]
	s_waitcnt lgkmcnt(0)
	v_add_f64 v[4:5], v[10:11], -v[70:71]
	v_add_f64 v[6:7], v[8:9], -v[68:69]
	s_mov_b32 s48, 0x5d8e7cdc
	s_mov_b32 s49, 0xbfd71e95
	v_add_f64 v[133:134], v[8:9], v[68:69]
	v_add_f64 v[135:136], v[10:11], v[70:71]
	v_add_f64 v[120:121], v[14:15], -v[66:67]
	v_add_f64 v[122:123], v[12:13], -v[64:65]
	v_mul_f64 v[125:126], v[4:5], s[48:49]
	v_mul_f64 v[127:128], v[6:7], s[48:49]
	s_mov_b32 s2, 0x370991
	s_mov_b32 s46, 0x2a9d6da3
	;; [unrolled: 1-line block ×16, first 2 shown]
	v_mul_f64 v[129:130], v[4:5], s[46:47]
	v_mul_f64 v[131:132], v[6:7], s[46:47]
	v_fma_f64 v[72:73], v[133:134], s[2:3], v[125:126]
	v_fma_f64 v[74:75], v[135:136], s[2:3], -v[127:128]
	v_mul_f64 v[76:77], v[4:5], s[44:45]
	v_mul_f64 v[78:79], v[6:7], s[44:45]
	;; [unrolled: 1-line block ×12, first 2 shown]
	v_add_f64 v[143:144], v[12:13], v[64:65]
	v_add_f64 v[145:146], v[14:15], v[66:67]
	v_mul_f64 v[137:138], v[120:121], s[46:47]
	v_mul_f64 v[139:140], v[122:123], s[46:47]
	s_mov_b32 s10, 0x75d4884
	s_mov_b32 s4, 0x2b2883cd
	;; [unrolled: 1-line block ×6, first 2 shown]
	v_fma_f64 v[84:85], v[133:134], s[4:5], -v[76:77]
	v_fma_f64 v[86:87], v[135:136], s[4:5], v[78:79]
	v_add_f64 v[72:73], v[0:1], v[72:73]
	v_add_f64 v[74:75], v[2:3], v[74:75]
	v_fma_f64 v[76:77], v[133:134], s[4:5], v[76:77]
	v_fma_f64 v[78:79], v[135:136], s[4:5], -v[78:79]
	v_fma_f64 v[141:142], v[133:134], s[34:35], -v[4:5]
	v_fma_f64 v[147:148], v[135:136], s[34:35], v[6:7]
	v_fma_f64 v[153:154], v[143:144], s[10:11], v[137:138]
	v_fma_f64 v[155:156], v[145:146], s[10:11], -v[139:140]
	v_mul_f64 v[157:158], v[120:121], s[20:21]
	v_mul_f64 v[159:160], v[122:123], s[20:21]
	s_mov_b32 s14, 0x3259b75e
	s_mov_b32 s22, 0x6ed5f1bb
	;; [unrolled: 1-line block ×4, first 2 shown]
	v_fma_f64 v[80:81], v[133:134], s[10:11], v[129:130]
	v_fma_f64 v[82:83], v[135:136], s[10:11], -v[131:132]
	v_fma_f64 v[96:97], v[133:134], s[14:15], -v[88:89]
	v_fma_f64 v[98:99], v[135:136], s[14:15], v[90:91]
	v_fma_f64 v[88:89], v[133:134], s[14:15], v[88:89]
	v_fma_f64 v[90:91], v[135:136], s[14:15], -v[90:91]
	v_add_f64 v[76:77], v[0:1], v[76:77]
	v_add_f64 v[78:79], v[2:3], v[78:79]
	;; [unrolled: 1-line block ×4, first 2 shown]
	v_mul_f64 v[141:142], v[120:121], s[30:31]
	v_mul_f64 v[147:148], v[122:123], s[30:31]
	v_add_f64 v[72:73], v[153:154], v[72:73]
	v_add_f64 v[74:75], v[155:156], v[74:75]
	v_mul_f64 v[153:154], v[120:121], s[28:29]
	v_mul_f64 v[155:156], v[122:123], s[28:29]
	v_fma_f64 v[165:166], v[143:144], s[22:23], -v[157:158]
	v_fma_f64 v[167:168], v[145:146], s[22:23], v[159:160]
	v_fma_f64 v[157:158], v[143:144], s[22:23], v[157:158]
	v_fma_f64 v[159:160], v[145:146], s[22:23], -v[159:160]
	s_mov_b32 s18, 0xc61f0d01
	s_mov_b32 s19, 0xbfd183b1
	;; [unrolled: 1-line block ×4, first 2 shown]
	v_add_f64 v[80:81], v[0:1], v[80:81]
	v_add_f64 v[82:83], v[2:3], v[82:83]
	;; [unrolled: 1-line block ×4, first 2 shown]
	v_fma_f64 v[100:101], v[133:134], s[18:19], -v[92:93]
	v_fma_f64 v[102:103], v[135:136], s[18:19], v[94:95]
	v_add_f64 v[88:89], v[0:1], v[88:89]
	v_add_f64 v[90:91], v[2:3], v[90:91]
	v_fma_f64 v[92:93], v[133:134], s[18:19], v[92:93]
	v_fma_f64 v[94:95], v[135:136], s[18:19], -v[94:95]
	v_fma_f64 v[161:162], v[143:144], s[14:15], v[141:142]
	v_fma_f64 v[163:164], v[145:146], s[14:15], -v[147:148]
	v_fma_f64 v[169:170], v[143:144], s[34:35], -v[153:154]
	v_fma_f64 v[171:172], v[145:146], s[34:35], v[155:156]
	v_add_f64 v[76:77], v[157:158], v[76:77]
	v_add_f64 v[78:79], v[159:160], v[78:79]
	v_mul_f64 v[157:158], v[120:121], s[36:37]
	v_mul_f64 v[159:160], v[122:123], s[36:37]
	v_fma_f64 v[153:154], v[143:144], s[34:35], v[153:154]
	v_fma_f64 v[155:156], v[145:146], s[34:35], -v[155:156]
	s_mov_b32 s26, 0x910ea3b9
	s_mov_b32 s27, 0xbfeb34fa
	;; [unrolled: 1-line block ×6, first 2 shown]
	v_add_f64 v[96:97], v[0:1], v[96:97]
	v_add_f64 v[98:99], v[2:3], v[98:99]
	v_fma_f64 v[112:113], v[133:134], s[22:23], -v[104:105]
	v_fma_f64 v[114:115], v[135:136], s[22:23], v[106:107]
	v_fma_f64 v[104:105], v[133:134], s[22:23], v[104:105]
	v_fma_f64 v[106:107], v[135:136], s[22:23], -v[106:107]
	v_fma_f64 v[116:117], v[133:134], s[26:27], -v[108:109]
	v_fma_f64 v[118:119], v[135:136], s[26:27], v[110:111]
	v_add_f64 v[92:93], v[0:1], v[92:93]
	v_add_f64 v[94:95], v[2:3], v[94:95]
	;; [unrolled: 1-line block ×6, first 2 shown]
	v_mul_f64 v[161:162], v[120:121], s[38:39]
	v_mul_f64 v[163:164], v[122:123], s[38:39]
	v_fma_f64 v[165:166], v[143:144], s[26:27], -v[157:158]
	v_fma_f64 v[167:168], v[145:146], s[26:27], v[159:160]
	v_fma_f64 v[157:158], v[143:144], s[26:27], v[157:158]
	v_fma_f64 v[159:160], v[145:146], s[26:27], -v[159:160]
	v_add_f64 v[88:89], v[153:154], v[88:89]
	v_add_f64 v[90:91], v[155:156], v[90:91]
	v_mul_f64 v[153:154], v[120:121], s[40:41]
	v_mul_f64 v[155:156], v[122:123], s[40:41]
	s_mov_b32 s43, 0x3fd71e95
	s_mov_b32 s42, s48
	v_add_f64 v[104:105], v[0:1], v[104:105]
	v_add_f64 v[106:107], v[2:3], v[106:107]
	;; [unrolled: 1-line block ×4, first 2 shown]
	v_fma_f64 v[108:109], v[133:134], s[26:27], v[108:109]
	v_fma_f64 v[110:111], v[135:136], s[26:27], -v[110:111]
	v_add_f64 v[96:97], v[169:170], v[96:97]
	v_add_f64 v[98:99], v[171:172], v[98:99]
	v_fma_f64 v[169:170], v[143:144], s[18:19], -v[161:162]
	v_fma_f64 v[171:172], v[145:146], s[18:19], v[163:164]
	v_add_f64 v[92:93], v[157:158], v[92:93]
	v_add_f64 v[94:95], v[159:160], v[94:95]
	v_fma_f64 v[157:158], v[143:144], s[18:19], v[161:162]
	v_fma_f64 v[159:160], v[145:146], s[18:19], -v[163:164]
	v_mul_f64 v[120:121], v[120:121], s[42:43]
	v_mul_f64 v[122:123], v[122:123], s[42:43]
	v_fma_f64 v[161:162], v[143:144], s[4:5], -v[153:154]
	v_fma_f64 v[163:164], v[145:146], s[4:5], v[155:156]
	v_add_f64 v[100:101], v[0:1], v[100:101]
	v_add_f64 v[114:115], v[2:3], v[114:115]
	v_fma_f64 v[4:5], v[133:134], s[34:35], v[4:5]
	v_fma_f64 v[6:7], v[135:136], s[34:35], -v[6:7]
	v_add_f64 v[108:109], v[0:1], v[108:109]
	v_add_f64 v[110:111], v[2:3], v[110:111]
	;; [unrolled: 1-line block ×4, first 2 shown]
	v_fma_f64 v[153:154], v[143:144], s[4:5], v[153:154]
	v_fma_f64 v[155:156], v[145:146], s[4:5], -v[155:156]
	v_fma_f64 v[157:158], v[143:144], s[2:3], -v[120:121]
	v_fma_f64 v[159:160], v[145:146], s[2:3], v[122:123]
	v_add_f64 v[116:117], v[161:162], v[116:117]
	v_add_f64 v[118:119], v[163:164], v[118:119]
	v_add_f64 v[161:162], v[18:19], -v[62:63]
	v_add_f64 v[163:164], v[16:17], -v[60:61]
	v_add_f64 v[102:103], v[2:3], v[102:103]
	v_add_f64 v[112:113], v[0:1], v[112:113]
	;; [unrolled: 1-line block ×12, first 2 shown]
	v_mul_f64 v[149:150], v[161:162], s[44:45]
	v_mul_f64 v[151:152], v[163:164], s[44:45]
	;; [unrolled: 1-line block ×4, first 2 shown]
	v_fma_f64 v[120:121], v[143:144], s[2:3], v[120:121]
	v_fma_f64 v[122:123], v[145:146], s[2:3], -v[122:123]
	s_mov_b32 s57, 0x3fc7851a
	s_mov_b32 s56, s28
	v_add_f64 v[102:103], v[167:168], v[102:103]
	v_add_f64 v[112:113], v[169:170], v[112:113]
	v_mul_f64 v[167:168], v[161:162], s[56:57]
	v_mul_f64 v[169:170], v[163:164], s[56:57]
	v_fma_f64 v[173:174], v[155:156], s[4:5], v[149:150]
	v_fma_f64 v[175:176], v[157:158], s[4:5], -v[151:152]
	v_fma_f64 v[177:178], v[155:156], s[22:23], v[153:154]
	v_fma_f64 v[179:180], v[157:158], s[22:23], -v[159:160]
	v_add_f64 v[4:5], v[120:121], v[4:5]
	v_add_f64 v[6:7], v[122:123], v[6:7]
	v_mul_f64 v[120:121], v[161:162], s[38:39]
	v_mul_f64 v[122:123], v[163:164], s[38:39]
	s_mov_b32 s51, 0x3fe58eea
	s_mov_b32 s50, s46
	v_fma_f64 v[181:182], v[155:156], s[34:35], -v[167:168]
	v_fma_f64 v[183:184], v[157:158], s[34:35], v[169:170]
	v_add_f64 v[72:73], v[173:174], v[72:73]
	v_add_f64 v[74:75], v[175:176], v[74:75]
	;; [unrolled: 1-line block ×4, first 2 shown]
	v_fma_f64 v[167:168], v[155:156], s[34:35], v[167:168]
	v_fma_f64 v[169:170], v[157:158], s[34:35], -v[169:170]
	v_mul_f64 v[173:174], v[161:162], s[50:51]
	v_mul_f64 v[175:176], v[163:164], s[50:51]
	v_fma_f64 v[177:178], v[155:156], s[18:19], -v[120:121]
	v_fma_f64 v[179:180], v[157:158], s[18:19], v[122:123]
	v_fma_f64 v[120:121], v[155:156], s[18:19], v[120:121]
	v_fma_f64 v[122:123], v[157:158], s[18:19], -v[122:123]
	v_add_f64 v[76:77], v[167:168], v[76:77]
	v_add_f64 v[78:79], v[169:170], v[78:79]
	v_fma_f64 v[167:168], v[155:156], s[10:11], -v[173:174]
	v_fma_f64 v[169:170], v[157:158], s[10:11], v[175:176]
	v_add_f64 v[96:97], v[177:178], v[96:97]
	v_add_f64 v[98:99], v[179:180], v[98:99]
	v_mul_f64 v[177:178], v[161:162], s[48:49]
	v_mul_f64 v[179:180], v[163:164], s[48:49]
	v_add_f64 v[88:89], v[120:121], v[88:89]
	v_add_f64 v[90:91], v[122:123], v[90:91]
	v_fma_f64 v[120:121], v[155:156], s[10:11], v[173:174]
	v_fma_f64 v[122:123], v[157:158], s[10:11], -v[175:176]
	v_mul_f64 v[173:174], v[161:162], s[30:31]
	v_mul_f64 v[175:176], v[163:164], s[30:31]
	v_add_f64 v[100:101], v[167:168], v[100:101]
	v_add_f64 v[102:103], v[169:170], v[102:103]
	v_fma_f64 v[167:168], v[155:156], s[2:3], -v[177:178]
	v_fma_f64 v[169:170], v[157:158], s[2:3], v[179:180]
	v_fma_f64 v[177:178], v[155:156], s[2:3], v[177:178]
	v_fma_f64 v[179:180], v[157:158], s[2:3], -v[179:180]
	v_add_f64 v[92:93], v[120:121], v[92:93]
	v_add_f64 v[94:95], v[122:123], v[94:95]
	v_fma_f64 v[120:121], v[155:156], s[14:15], -v[173:174]
	v_fma_f64 v[122:123], v[157:158], s[14:15], v[175:176]
	v_add_f64 v[112:113], v[167:168], v[112:113]
	v_add_f64 v[114:115], v[169:170], v[114:115]
	;; [unrolled: 1-line block ×4, first 2 shown]
	v_mul_f64 v[177:178], v[161:162], s[24:25]
	v_mul_f64 v[179:180], v[163:164], s[24:25]
	v_fma_f64 v[161:162], v[155:156], s[14:15], v[173:174]
	v_fma_f64 v[163:164], v[157:158], s[14:15], -v[175:176]
	v_add_f64 v[116:117], v[120:121], v[116:117]
	v_add_f64 v[118:119], v[122:123], v[118:119]
	v_add_f64 v[120:121], v[22:23], -v[58:59]
	v_add_f64 v[122:123], v[20:21], -v[56:57]
	v_fma_f64 v[173:174], v[155:156], s[26:27], -v[177:178]
	v_fma_f64 v[175:176], v[157:158], s[26:27], v[179:180]
	v_add_f64 v[108:109], v[161:162], v[108:109]
	v_add_f64 v[110:111], v[163:164], v[110:111]
	;; [unrolled: 1-line block ×4, first 2 shown]
	v_mul_f64 v[161:162], v[120:121], s[30:31]
	v_mul_f64 v[163:164], v[122:123], s[30:31]
	v_add_f64 v[84:85], v[181:182], v[84:85]
	v_add_f64 v[86:87], v[183:184], v[86:87]
	;; [unrolled: 1-line block ×4, first 2 shown]
	v_mul_f64 v[165:166], v[120:121], s[28:29]
	v_mul_f64 v[171:172], v[122:123], s[28:29]
	v_fma_f64 v[173:174], v[155:156], s[26:27], v[177:178]
	v_fma_f64 v[175:176], v[157:158], s[26:27], -v[179:180]
	v_fma_f64 v[177:178], v[167:168], s[14:15], v[161:162]
	v_fma_f64 v[179:180], v[169:170], s[14:15], -v[163:164]
	v_mul_f64 v[181:182], v[120:121], s[38:39]
	v_mul_f64 v[187:188], v[122:123], s[38:39]
	v_fma_f64 v[189:190], v[167:168], s[34:35], v[165:166]
	v_fma_f64 v[191:192], v[169:170], s[34:35], -v[171:172]
	v_add_f64 v[4:5], v[173:174], v[4:5]
	v_add_f64 v[6:7], v[175:176], v[6:7]
	;; [unrolled: 1-line block ×4, first 2 shown]
	v_fma_f64 v[173:174], v[167:168], s[18:19], -v[181:182]
	v_fma_f64 v[175:176], v[169:170], s[18:19], v[187:188]
	v_mul_f64 v[177:178], v[120:121], s[42:43]
	v_mul_f64 v[179:180], v[122:123], s[42:43]
	v_add_f64 v[80:81], v[189:190], v[80:81]
	v_add_f64 v[82:83], v[191:192], v[82:83]
	v_fma_f64 v[181:182], v[167:168], s[18:19], v[181:182]
	v_fma_f64 v[187:188], v[169:170], s[18:19], -v[187:188]
	v_add_f64 v[84:85], v[173:174], v[84:85]
	v_add_f64 v[86:87], v[175:176], v[86:87]
	v_mul_f64 v[173:174], v[120:121], s[44:45]
	v_mul_f64 v[175:176], v[122:123], s[44:45]
	v_fma_f64 v[189:190], v[167:168], s[2:3], -v[177:178]
	v_fma_f64 v[191:192], v[169:170], s[2:3], v[179:180]
	v_add_f64 v[76:77], v[181:182], v[76:77]
	v_add_f64 v[78:79], v[187:188], v[78:79]
	v_fma_f64 v[177:178], v[167:168], s[2:3], v[177:178]
	v_fma_f64 v[179:180], v[169:170], s[2:3], -v[179:180]
	v_fma_f64 v[181:182], v[167:168], s[4:5], -v[173:174]
	v_fma_f64 v[187:188], v[169:170], s[4:5], v[175:176]
	v_add_f64 v[96:97], v[189:190], v[96:97]
	v_add_f64 v[98:99], v[191:192], v[98:99]
	v_mul_f64 v[189:190], v[120:121], s[24:25]
	v_mul_f64 v[191:192], v[122:123], s[24:25]
	s_mov_b32 s55, 0x3fe9895b
	s_mov_b32 s54, s20
	v_add_f64 v[88:89], v[177:178], v[88:89]
	v_add_f64 v[90:91], v[179:180], v[90:91]
	;; [unrolled: 1-line block ×4, first 2 shown]
	v_fma_f64 v[173:174], v[167:168], s[4:5], v[173:174]
	v_fma_f64 v[175:176], v[169:170], s[4:5], -v[175:176]
	v_fma_f64 v[177:178], v[167:168], s[26:27], -v[189:190]
	v_fma_f64 v[179:180], v[169:170], s[26:27], v[191:192]
	v_mul_f64 v[181:182], v[120:121], s[54:55]
	v_mul_f64 v[187:188], v[122:123], s[54:55]
	v_fma_f64 v[189:190], v[167:168], s[26:27], v[189:190]
	v_fma_f64 v[191:192], v[169:170], s[26:27], -v[191:192]
	v_add_f64 v[92:93], v[173:174], v[92:93]
	v_add_f64 v[94:95], v[175:176], v[94:95]
	;; [unrolled: 1-line block ×4, first 2 shown]
	v_fma_f64 v[173:174], v[167:168], s[22:23], -v[181:182]
	v_fma_f64 v[175:176], v[169:170], s[22:23], v[187:188]
	v_add_f64 v[104:105], v[189:190], v[104:105]
	v_fma_f64 v[177:178], v[167:168], s[22:23], v[181:182]
	v_fma_f64 v[179:180], v[169:170], s[22:23], -v[187:188]
	v_mul_f64 v[120:121], v[120:121], s[50:51]
	v_mul_f64 v[122:123], v[122:123], s[50:51]
	v_add_f64 v[187:188], v[52:53], v[24:25]
	v_add_f64 v[189:190], v[24:25], -v[52:53]
	v_add_f64 v[106:107], v[191:192], v[106:107]
	v_add_f64 v[116:117], v[173:174], v[116:117]
	;; [unrolled: 1-line block ×5, first 2 shown]
	v_fma_f64 v[177:178], v[167:168], s[10:11], -v[120:121]
	v_fma_f64 v[191:192], v[169:170], s[10:11], v[122:123]
	v_add_f64 v[179:180], v[54:55], v[26:27]
	v_add_f64 v[181:182], v[26:27], -v[54:55]
	v_mul_f64 v[173:174], v[187:188], s[18:19]
	v_mul_f64 v[175:176], v[189:190], s[16:17]
	v_fma_f64 v[120:121], v[167:168], s[10:11], v[120:121]
	v_fma_f64 v[122:123], v[169:170], s[10:11], -v[122:123]
	v_add_f64 v[195:196], v[177:178], v[183:184]
	v_add_f64 v[197:198], v[191:192], v[185:186]
	v_mul_f64 v[177:178], v[187:188], s[26:27]
	v_mul_f64 v[183:184], v[189:190], s[36:37]
	v_fma_f64 v[185:186], v[181:182], s[16:17], v[173:174]
	v_fma_f64 v[191:192], v[179:180], s[18:19], -v[175:176]
	v_add_f64 v[4:5], v[120:121], v[4:5]
	v_add_f64 v[6:7], v[122:123], v[6:7]
	v_mul_f64 v[120:121], v[187:188], s[10:11]
	v_mul_f64 v[122:123], v[189:190], s[50:51]
	v_fma_f64 v[193:194], v[181:182], s[36:37], v[177:178]
	v_fma_f64 v[199:200], v[179:180], s[26:27], -v[183:184]
	v_add_f64 v[72:73], v[185:186], v[72:73]
	v_add_f64 v[74:75], v[191:192], v[74:75]
	v_mul_f64 v[185:186], v[187:188], s[4:5]
	v_mul_f64 v[191:192], v[189:190], s[44:45]
	v_fma_f64 v[201:202], v[181:182], s[46:47], v[120:121]
	v_fma_f64 v[203:204], v[179:180], s[10:11], v[122:123]
	;; [unrolled: 1-line block ×3, first 2 shown]
	v_fma_f64 v[122:123], v[179:180], s[10:11], -v[122:123]
	v_add_f64 v[80:81], v[193:194], v[80:81]
	v_add_f64 v[82:83], v[199:200], v[82:83]
	v_fma_f64 v[193:194], v[181:182], s[40:41], v[185:186]
	v_fma_f64 v[199:200], v[179:180], s[4:5], v[191:192]
	v_add_f64 v[84:85], v[201:202], v[84:85]
	v_add_f64 v[86:87], v[203:204], v[86:87]
	v_mul_f64 v[201:202], v[187:188], s[34:35]
	v_mul_f64 v[203:204], v[189:190], s[28:29]
	v_add_f64 v[76:77], v[120:121], v[76:77]
	v_add_f64 v[78:79], v[122:123], v[78:79]
	v_fma_f64 v[120:121], v[181:182], s[44:45], v[185:186]
	v_fma_f64 v[122:123], v[179:180], s[4:5], -v[191:192]
	s_mov_b32 s53, 0x3fefdd0d
	s_mov_b32 s52, s30
	v_add_f64 v[96:97], v[193:194], v[96:97]
	v_add_f64 v[98:99], v[199:200], v[98:99]
	v_fma_f64 v[185:186], v[181:182], s[56:57], v[201:202]
	v_fma_f64 v[191:192], v[179:180], s[34:35], v[203:204]
	v_mul_f64 v[193:194], v[187:188], s[14:15]
	v_mul_f64 v[199:200], v[189:190], s[52:53]
	v_add_f64 v[88:89], v[120:121], v[88:89]
	v_add_f64 v[90:91], v[122:123], v[90:91]
	v_fma_f64 v[120:121], v[181:182], s[28:29], v[201:202]
	v_fma_f64 v[122:123], v[179:180], s[34:35], -v[203:204]
	v_mul_f64 v[201:202], v[187:188], s[2:3]
	v_mul_f64 v[203:204], v[189:190], s[48:49]
	v_add_f64 v[100:101], v[185:186], v[100:101]
	v_add_f64 v[102:103], v[191:192], v[102:103]
	v_fma_f64 v[185:186], v[181:182], s[30:31], v[193:194]
	v_fma_f64 v[191:192], v[179:180], s[14:15], v[199:200]
	v_fma_f64 v[199:200], v[179:180], s[14:15], -v[199:200]
	v_add_f64 v[92:93], v[120:121], v[92:93]
	v_add_f64 v[94:95], v[122:123], v[94:95]
	v_fma_f64 v[120:121], v[181:182], s[42:43], v[201:202]
	v_fma_f64 v[122:123], v[179:180], s[2:3], v[203:204]
	v_mul_f64 v[205:206], v[189:190], s[20:21]
	v_fma_f64 v[193:194], v[181:182], s[52:53], v[193:194]
	v_add_f64 v[112:113], v[185:186], v[112:113]
	v_add_f64 v[106:107], v[199:200], v[106:107]
	v_mul_f64 v[199:200], v[187:188], s[22:23]
	v_fma_f64 v[185:186], v[181:182], s[48:49], v[201:202]
	v_add_f64 v[116:117], v[120:121], v[116:117]
	v_add_f64 v[118:119], v[122:123], v[118:119]
	;; [unrolled: 1-line block ×3, first 2 shown]
	v_add_f64 v[122:123], v[28:29], -v[48:49]
	v_fma_f64 v[201:202], v[179:180], s[22:23], v[205:206]
	v_add_f64 v[114:115], v[191:192], v[114:115]
	v_add_f64 v[104:105], v[193:194], v[104:105]
	v_fma_f64 v[187:188], v[179:180], s[2:3], -v[203:204]
	v_fma_f64 v[189:190], v[181:182], s[54:55], v[199:200]
	v_add_f64 v[191:192], v[50:51], v[30:31]
	v_add_f64 v[193:194], v[30:31], -v[50:51]
	v_mul_f64 v[209:210], v[120:121], s[2:3]
	v_add_f64 v[201:202], v[201:202], v[197:198]
	v_fma_f64 v[197:198], v[181:182], s[20:21], v[199:200]
	v_fma_f64 v[199:200], v[179:180], s[22:23], -v[205:206]
	v_mul_f64 v[211:212], v[122:123], s[48:49]
	v_add_f64 v[108:109], v[185:186], v[108:109]
	v_add_f64 v[110:111], v[187:188], v[110:111]
	v_mul_f64 v[185:186], v[120:121], s[22:23]
	v_mul_f64 v[187:188], v[122:123], s[20:21]
	v_add_f64 v[207:208], v[189:190], v[195:196]
	v_add_f64 v[4:5], v[197:198], v[4:5]
	;; [unrolled: 1-line block ×3, first 2 shown]
	v_fma_f64 v[197:198], v[193:194], s[42:43], v[209:210]
	v_fma_f64 v[199:200], v[191:192], s[2:3], v[211:212]
	v_mul_f64 v[189:190], v[120:121], s[18:19]
	v_mul_f64 v[195:196], v[122:123], s[38:39]
	v_fma_f64 v[203:204], v[193:194], s[20:21], v[185:186]
	v_fma_f64 v[205:206], v[191:192], s[22:23], -v[187:188]
	v_fma_f64 v[209:210], v[193:194], s[48:49], v[209:210]
	v_fma_f64 v[211:212], v[191:192], s[2:3], -v[211:212]
	v_add_f64 v[84:85], v[197:198], v[84:85]
	v_add_f64 v[86:87], v[199:200], v[86:87]
	v_mul_f64 v[197:198], v[120:121], s[14:15]
	v_mul_f64 v[199:200], v[122:123], s[52:53]
	v_fma_f64 v[213:214], v[193:194], s[38:39], v[189:190]
	v_fma_f64 v[215:216], v[191:192], s[18:19], -v[195:196]
	v_add_f64 v[72:73], v[203:204], v[72:73]
	v_add_f64 v[74:75], v[205:206], v[74:75]
	v_mul_f64 v[203:204], v[120:121], s[26:27]
	v_mul_f64 v[205:206], v[122:123], s[24:25]
	v_add_f64 v[76:77], v[209:210], v[76:77]
	v_add_f64 v[78:79], v[211:212], v[78:79]
	v_fma_f64 v[209:210], v[193:194], s[30:31], v[197:198]
	v_fma_f64 v[211:212], v[191:192], s[14:15], v[199:200]
	v_add_f64 v[80:81], v[213:214], v[80:81]
	v_add_f64 v[82:83], v[215:216], v[82:83]
	v_fma_f64 v[213:214], v[193:194], s[36:37], v[203:204]
	v_fma_f64 v[215:216], v[191:192], s[26:27], v[205:206]
	;; [unrolled: 1-line block ×3, first 2 shown]
	v_fma_f64 v[199:200], v[191:192], s[14:15], -v[199:200]
	v_add_f64 v[100:101], v[209:210], v[100:101]
	v_add_f64 v[102:103], v[211:212], v[102:103]
	v_mul_f64 v[209:210], v[120:121], s[34:35]
	v_mul_f64 v[211:212], v[122:123], s[28:29]
	v_fma_f64 v[203:204], v[193:194], s[24:25], v[203:204]
	v_fma_f64 v[205:206], v[191:192], s[26:27], -v[205:206]
	v_add_f64 v[96:97], v[213:214], v[96:97]
	v_add_f64 v[98:99], v[215:216], v[98:99]
	v_mul_f64 v[213:214], v[120:121], s[10:11]
	v_mul_f64 v[215:216], v[122:123], s[46:47]
	v_add_f64 v[217:218], v[197:198], v[92:93]
	v_add_f64 v[219:220], v[199:200], v[94:95]
	v_fma_f64 v[92:93], v[193:194], s[56:57], v[209:210]
	v_fma_f64 v[94:95], v[191:192], s[34:35], v[211:212]
	v_mul_f64 v[120:121], v[120:121], s[4:5]
	v_mul_f64 v[122:123], v[122:123], s[40:41]
	v_add_f64 v[88:89], v[203:204], v[88:89]
	v_add_f64 v[90:91], v[205:206], v[90:91]
	v_fma_f64 v[203:204], v[193:194], s[50:51], v[213:214]
	v_fma_f64 v[205:206], v[191:192], s[10:11], v[215:216]
	;; [unrolled: 1-line block ×3, first 2 shown]
	v_fma_f64 v[215:216], v[191:192], s[10:11], -v[215:216]
	v_fma_f64 v[197:198], v[193:194], s[28:29], v[209:210]
	v_fma_f64 v[199:200], v[191:192], s[34:35], -v[211:212]
	v_add_f64 v[116:117], v[92:93], v[116:117]
	v_add_f64 v[118:119], v[94:95], v[118:119]
	;; [unrolled: 1-line block ×3, first 2 shown]
	v_add_f64 v[211:212], v[32:33], -v[44:45]
	v_fma_f64 v[92:93], v[193:194], s[44:45], v[120:121]
	v_fma_f64 v[94:95], v[191:192], s[4:5], v[122:123]
	v_add_f64 v[112:113], v[203:204], v[112:113]
	v_add_f64 v[114:115], v[205:206], v[114:115]
	;; [unrolled: 1-line block ×7, first 2 shown]
	v_add_f64 v[205:206], v[34:35], -v[46:47]
	v_mul_f64 v[197:198], v[209:210], s[26:27]
	v_mul_f64 v[199:200], v[211:212], s[24:25]
	v_add_f64 v[221:222], v[92:93], v[207:208]
	v_add_f64 v[223:224], v[94:95], v[201:202]
	v_mul_f64 v[201:202], v[209:210], s[4:5]
	v_mul_f64 v[207:208], v[211:212], s[40:41]
	v_fma_f64 v[92:93], v[193:194], s[40:41], v[120:121]
	v_fma_f64 v[94:95], v[191:192], s[4:5], -v[122:123]
	v_fma_f64 v[108:109], v[205:206], s[24:25], v[197:198]
	v_fma_f64 v[110:111], v[203:204], s[26:27], -v[199:200]
	v_mul_f64 v[120:121], v[209:210], s[14:15]
	v_mul_f64 v[122:123], v[211:212], s[30:31]
	v_fma_f64 v[225:226], v[205:206], s[40:41], v[201:202]
	v_fma_f64 v[227:228], v[203:204], s[4:5], -v[207:208]
	v_add_f64 v[4:5], v[92:93], v[4:5]
	v_add_f64 v[6:7], v[94:95], v[6:7]
	v_add_f64 v[237:238], v[108:109], v[72:73]
	v_add_f64 v[239:240], v[110:111], v[74:75]
	v_fma_f64 v[92:93], v[205:206], s[52:53], v[120:121]
	v_fma_f64 v[94:95], v[203:204], s[14:15], v[122:123]
	v_add_f64 v[72:73], v[225:226], v[80:81]
	v_add_f64 v[74:75], v[227:228], v[82:83]
	v_mul_f64 v[108:109], v[209:210], s[22:23]
	v_mul_f64 v[110:111], v[211:212], s[54:55]
	v_fma_f64 v[80:81], v[205:206], s[30:31], v[120:121]
	v_fma_f64 v[82:83], v[203:204], s[14:15], -v[122:123]
	v_mul_f64 v[120:121], v[209:210], s[2:3]
	v_mul_f64 v[122:123], v[211:212], s[48:49]
	v_add_f64 v[84:85], v[92:93], v[84:85]
	v_add_f64 v[86:87], v[94:95], v[86:87]
	v_fma_f64 v[92:93], v[205:206], s[20:21], v[108:109]
	v_fma_f64 v[94:95], v[203:204], s[22:23], v[110:111]
	v_add_f64 v[80:81], v[80:81], v[76:77]
	v_add_f64 v[82:83], v[82:83], v[78:79]
	v_fma_f64 v[76:77], v[205:206], s[54:55], v[108:109]
	v_fma_f64 v[78:79], v[203:204], s[22:23], -v[110:111]
	v_fma_f64 v[108:109], v[205:206], s[42:43], v[120:121]
	v_fma_f64 v[110:111], v[203:204], s[2:3], v[122:123]
	v_add_f64 v[92:93], v[92:93], v[96:97]
	v_add_f64 v[94:95], v[94:95], v[98:99]
	v_mul_f64 v[225:226], v[209:210], s[34:35]
	v_mul_f64 v[227:228], v[211:212], s[28:29]
	v_add_f64 v[88:89], v[76:77], v[88:89]
	v_add_f64 v[90:91], v[78:79], v[90:91]
	;; [unrolled: 1-line block ×4, first 2 shown]
	v_fma_f64 v[76:77], v[205:206], s[48:49], v[120:121]
	v_fma_f64 v[78:79], v[203:204], s[2:3], -v[122:123]
	v_mul_f64 v[108:109], v[209:210], s[10:11]
	v_mul_f64 v[110:111], v[211:212], s[50:51]
	v_fma_f64 v[100:101], v[205:206], s[56:57], v[225:226]
	v_fma_f64 v[102:103], v[203:204], s[34:35], v[227:228]
	;; [unrolled: 1-line block ×3, first 2 shown]
	v_fma_f64 v[122:123], v[203:204], s[34:35], -v[227:228]
	v_add_f64 v[225:226], v[76:77], v[217:218]
	v_add_f64 v[227:228], v[78:79], v[219:220]
	v_fma_f64 v[76:77], v[205:206], s[46:47], v[108:109]
	v_fma_f64 v[78:79], v[203:204], s[10:11], v[110:111]
	v_add_f64 v[100:101], v[100:101], v[112:113]
	v_add_f64 v[102:103], v[102:103], v[114:115]
	;; [unrolled: 1-line block ×4, first 2 shown]
	v_fma_f64 v[112:113], v[205:206], s[50:51], v[108:109]
	v_fma_f64 v[114:115], v[203:204], s[10:11], -v[110:111]
	v_mul_f64 v[120:121], v[209:210], s[18:19]
	v_mul_f64 v[122:123], v[211:212], s[16:17]
	v_add_f64 v[108:109], v[76:77], v[116:117]
	v_add_f64 v[110:111], v[78:79], v[118:119]
	;; [unrolled: 1-line block ×3, first 2 shown]
	v_add_f64 v[116:117], v[36:37], -v[40:41]
	v_add_f64 v[112:113], v[112:113], v[213:214]
	v_add_f64 v[114:115], v[114:115], v[215:216]
	v_fma_f64 v[76:77], v[205:206], s[38:39], v[120:121]
	v_fma_f64 v[78:79], v[203:204], s[18:19], v[122:123]
	v_add_f64 v[213:214], v[42:43], v[38:39]
	v_add_f64 v[215:216], v[38:39], -v[42:43]
	v_mul_f64 v[209:210], v[118:119], s[34:35]
	v_mul_f64 v[211:212], v[116:117], s[28:29]
	v_fma_f64 v[241:242], v[205:206], s[16:17], v[120:121]
	v_fma_f64 v[243:244], v[203:204], s[18:19], -v[122:123]
	v_add_f64 v[120:121], v[76:77], v[221:222]
	v_add_f64 v[122:123], v[78:79], v[223:224]
	v_mul_f64 v[217:218], v[118:119], s[2:3]
	v_mul_f64 v[219:220], v[116:117], s[42:43]
	v_fma_f64 v[76:77], v[215:216], s[28:29], v[209:210]
	v_fma_f64 v[78:79], v[213:214], s[34:35], -v[211:212]
	v_add_f64 v[223:224], v[241:242], v[4:5]
	v_add_f64 v[221:222], v[243:244], v[6:7]
	;; [unrolled: 6-line block ×3, first 2 shown]
	v_mul_f64 v[237:238], v[118:119], s[10:11]
	v_mul_f64 v[239:240], v[116:117], s[50:51]
	v_fma_f64 v[249:250], v[215:216], s[36:37], v[241:242]
	v_fma_f64 v[251:252], v[213:214], s[26:27], v[243:244]
	v_add_f64 v[76:77], v[245:246], v[72:73]
	v_add_f64 v[78:79], v[247:248], v[74:75]
	v_fma_f64 v[241:242], v[215:216], s[24:25], v[241:242]
	v_fma_f64 v[243:244], v[213:214], s[26:27], -v[243:244]
	v_fma_f64 v[245:246], v[215:216], s[46:47], v[237:238]
	v_fma_f64 v[247:248], v[213:214], s[10:11], v[239:240]
	v_add_f64 v[72:73], v[249:250], v[84:85]
	v_add_f64 v[74:75], v[251:252], v[86:87]
	v_mul_f64 v[249:250], v[118:119], s[22:23]
	v_mul_f64 v[251:252], v[116:117], s[20:21]
	v_add_f64 v[84:85], v[241:242], v[80:81]
	v_add_f64 v[86:87], v[243:244], v[82:83]
	;; [unrolled: 1-line block ×4, first 2 shown]
	v_fma_f64 v[92:93], v[215:216], s[50:51], v[237:238]
	v_fma_f64 v[94:95], v[213:214], s[10:11], -v[239:240]
	v_fma_f64 v[237:238], v[215:216], s[54:55], v[249:250]
	v_fma_f64 v[239:240], v[213:214], s[22:23], v[251:252]
	v_mul_f64 v[241:242], v[118:119], s[4:5]
	v_mul_f64 v[243:244], v[116:117], s[40:41]
	v_fma_f64 v[245:246], v[215:216], s[20:21], v[249:250]
	v_fma_f64 v[247:248], v[213:214], s[22:23], -v[251:252]
	v_add_f64 v[92:93], v[92:93], v[88:89]
	v_add_f64 v[94:95], v[94:95], v[90:91]
	;; [unrolled: 1-line block ×4, first 2 shown]
	v_fma_f64 v[237:238], v[215:216], s[44:45], v[241:242]
	v_fma_f64 v[239:240], v[213:214], s[4:5], v[243:244]
	v_add_f64 v[96:97], v[245:246], v[225:226]
	v_add_f64 v[98:99], v[247:248], v[227:228]
	v_fma_f64 v[225:226], v[215:216], s[40:41], v[241:242]
	v_fma_f64 v[227:228], v[213:214], s[4:5], -v[243:244]
	v_mul_f64 v[241:242], v[118:119], s[18:19]
	v_mul_f64 v[243:244], v[116:117], s[16:17]
	;; [unrolled: 1-line block ×4, first 2 shown]
	v_add_f64 v[100:101], v[237:238], v[100:101]
	v_add_f64 v[102:103], v[239:240], v[102:103]
	;; [unrolled: 1-line block ×4, first 2 shown]
	v_fma_f64 v[225:226], v[215:216], s[38:39], v[241:242]
	v_fma_f64 v[227:228], v[213:214], s[18:19], v[243:244]
	;; [unrolled: 1-line block ×3, first 2 shown]
	v_fma_f64 v[239:240], v[213:214], s[18:19], -v[243:244]
	v_fma_f64 v[241:242], v[215:216], s[30:31], v[118:119]
	v_fma_f64 v[243:244], v[213:214], s[14:15], v[116:117]
	;; [unrolled: 1-line block ×3, first 2 shown]
	v_fma_f64 v[247:248], v[213:214], s[14:15], -v[116:117]
	v_add_f64 v[108:109], v[225:226], v[108:109]
	v_add_f64 v[110:111], v[227:228], v[110:111]
	;; [unrolled: 1-line block ×8, first 2 shown]
	v_mul_lo_u16_e32 v221, 17, v234
	s_barrier
	s_and_saveexec_b64 s[30:31], vcc
	s_cbranch_execz .LBB0_7
; %bb.6:
	v_add_f64 v[10:11], v[10:11], v[2:3]
	v_add_f64 v[8:9], v[8:9], v[0:1]
	v_mul_f64 v[222:223], v[135:136], s[10:11]
	v_mul_f64 v[224:225], v[133:134], s[2:3]
	;; [unrolled: 1-line block ×6, first 2 shown]
	v_add_f64 v[10:11], v[14:15], v[10:11]
	v_add_f64 v[8:9], v[12:13], v[8:9]
	;; [unrolled: 1-line block ×3, first 2 shown]
	v_mul_f64 v[145:146], v[145:146], s[10:11]
	v_add_f64 v[127:128], v[127:128], v[135:136]
	v_add_f64 v[125:126], v[224:225], -v[125:126]
	v_mul_f64 v[143:144], v[143:144], s[14:15]
	v_mul_f64 v[239:240], v[157:158], s[22:23]
	v_add_f64 v[10:11], v[18:19], v[10:11]
	v_add_f64 v[8:9], v[16:17], v[8:9]
	;; [unrolled: 1-line block ×4, first 2 shown]
	v_mul_f64 v[222:223], v[155:156], s[4:5]
	v_mul_f64 v[14:15], v[157:158], s[4:5]
	v_add_f64 v[2:3], v[2:3], v[127:128]
	v_add_f64 v[127:128], v[226:227], -v[137:138]
	v_add_f64 v[10:11], v[22:23], v[10:11]
	v_add_f64 v[8:9], v[20:21], v[8:9]
	v_mul_f64 v[131:132], v[155:156], s[22:23]
	v_mul_f64 v[157:158], v[169:170], s[34:35]
	v_add_f64 v[159:160], v[159:160], v[239:240]
	v_add_f64 v[12:13], v[147:148], v[12:13]
	v_mul_f64 v[155:156], v[167:168], s[14:15]
	v_mul_f64 v[16:17], v[169:170], s[14:15]
	v_add_f64 v[10:11], v[26:27], v[10:11]
	v_add_f64 v[8:9], v[24:25], v[8:9]
	;; [unrolled: 1-line block ×3, first 2 shown]
	v_mul_f64 v[18:19], v[167:168], s[34:35]
	v_mul_f64 v[167:168], v[179:180], s[26:27]
	v_add_f64 v[157:158], v[171:172], v[157:158]
	v_add_f64 v[12:13], v[159:160], v[12:13]
	v_mul_f64 v[147:148], v[181:182], s[16:17]
	v_add_f64 v[10:11], v[30:31], v[10:11]
	v_add_f64 v[8:9], v[28:29], v[8:9]
	v_mul_f64 v[20:21], v[179:180], s[18:19]
	v_add_f64 v[16:17], v[163:164], v[16:17]
	v_mul_f64 v[22:23], v[181:182], s[36:37]
	v_add_f64 v[18:19], v[18:19], -v[165:166]
	v_mul_f64 v[169:170], v[191:192], s[18:19]
	v_add_f64 v[167:168], v[167:168], v[183:184]
	v_add_f64 v[10:11], v[34:35], v[10:11]
	;; [unrolled: 1-line block ×4, first 2 shown]
	v_mul_f64 v[159:160], v[193:194], s[20:21]
	v_mul_f64 v[24:25], v[191:192], s[22:23]
	v_add_f64 v[20:21], v[20:21], v[175:176]
	v_mul_f64 v[26:27], v[193:194], s[38:39]
	v_add_f64 v[22:23], v[177:178], -v[22:23]
	v_add_f64 v[10:11], v[38:39], v[10:11]
	v_add_f64 v[8:9], v[36:37], v[8:9]
	v_add_f64 v[36:37], v[133:134], -v[129:130]
	v_add_f64 v[129:130], v[139:140], v[145:146]
	v_add_f64 v[38:39], v[143:144], -v[141:142]
	v_mul_f64 v[171:172], v[203:204], s[4:5]
	v_add_f64 v[169:170], v[169:170], v[195:196]
	v_add_f64 v[12:13], v[167:168], v[12:13]
	;; [unrolled: 1-line block ×7, first 2 shown]
	v_add_f64 v[42:43], v[222:223], -v[149:150]
	v_add_f64 v[36:37], v[131:132], -v[153:154]
	v_mul_f64 v[157:158], v[205:206], s[24:25]
	v_add_f64 v[10:11], v[46:47], v[10:11]
	v_add_f64 v[8:9], v[44:45], v[8:9]
	;; [unrolled: 1-line block ×5, first 2 shown]
	v_add_f64 v[14:15], v[155:156], -v[161:162]
	v_mul_f64 v[28:29], v[203:204], s[26:27]
	v_add_f64 v[24:25], v[24:25], v[187:188]
	v_add_f64 v[10:11], v[50:51], v[10:11]
	;; [unrolled: 1-line block ×6, first 2 shown]
	v_add_f64 v[16:17], v[173:174], -v[147:148]
	v_mul_f64 v[30:31], v[205:206], s[40:41]
	v_mul_f64 v[167:168], v[213:214], s[2:3]
	v_add_f64 v[10:11], v[54:55], v[10:11]
	v_add_f64 v[8:9], v[52:53], v[8:9]
	v_add_f64 v[14:15], v[14:15], v[38:39]
	v_add_f64 v[0:1], v[18:19], v[0:1]
	v_add_f64 v[2:3], v[20:21], v[2:3]
	v_add_f64 v[20:21], v[185:186], -v[159:160]
	v_add_f64 v[18:19], v[189:190], -v[26:27]
	v_add_f64 v[171:172], v[171:172], v[207:208]
	v_add_f64 v[10:11], v[58:59], v[10:11]
	;; [unrolled: 1-line block ×6, first 2 shown]
	v_mul_f64 v[179:180], v[215:216], s[28:29]
	v_mul_f64 v[32:33], v[213:214], s[34:35]
	v_add_f64 v[22:23], v[28:29], v[199:200]
	v_add_f64 v[10:11], v[62:63], v[10:11]
	;; [unrolled: 1-line block ×4, first 2 shown]
	v_add_f64 v[24:25], v[197:198], -v[157:158]
	v_add_f64 v[14:15], v[20:21], v[14:15]
	v_mul_f64 v[34:35], v[215:216], s[42:43]
	v_add_f64 v[16:17], v[201:202], -v[30:31]
	v_add_f64 v[0:1], v[18:19], v[0:1]
	v_add_f64 v[167:168], v[167:168], v[219:220]
	;; [unrolled: 1-line block ×7, first 2 shown]
	v_add_f64 v[26:27], v[209:210], -v[179:180]
	v_add_f64 v[24:25], v[24:25], v[14:15]
	v_add_f64 v[18:19], v[217:218], -v[34:35]
	v_add_f64 v[0:1], v[16:17], v[0:1]
	v_add_f64 v[2:3], v[167:168], v[12:13]
	;; [unrolled: 1-line block ×5, first 2 shown]
	v_add_lshl_u32 v16, v235, v221, 4
	v_add_f64 v[8:9], v[26:27], v[24:25]
	v_add_f64 v[0:1], v[18:19], v[0:1]
	ds_write_b128 v16, v[12:15]
	ds_write_b128 v16, v[8:11] offset:16
	ds_write_b128 v16, v[0:3] offset:32
	;; [unrolled: 1-line block ×16, first 2 shown]
.LBB0_7:
	s_or_b64 exec, exec, s[30:31]
	v_lshlrev_b32_e32 v12, 5, v234
	s_load_dwordx4 s[0:3], s[0:1], 0x0
	s_waitcnt lgkmcnt(0)
	s_barrier
	global_load_dwordx4 v[8:11], v12, s[8:9]
	global_load_dwordx4 v[0:3], v12, s[8:9] offset:16
	v_add_lshl_u32 v178, v235, v234, 4
	ds_read_b128 v[12:15], v178 offset:272
	ds_read_b128 v[16:19], v178 offset:544
	s_mov_b32 s4, 0xe8584caa
	s_mov_b32 s5, 0x3febb67a
	;; [unrolled: 1-line block ×4, first 2 shown]
	v_lshl_add_u32 v177, v234, 4, v236
	s_waitcnt vmcnt(1) lgkmcnt(1)
	v_mul_f64 v[20:21], v[14:15], v[10:11]
	v_mul_f64 v[22:23], v[12:13], v[10:11]
	s_waitcnt vmcnt(0) lgkmcnt(0)
	v_mul_f64 v[24:25], v[18:19], v[2:3]
	v_mul_f64 v[26:27], v[16:17], v[2:3]
	v_fma_f64 v[20:21], v[12:13], v[8:9], -v[20:21]
	v_fma_f64 v[22:23], v[14:15], v[8:9], v[22:23]
	v_fma_f64 v[16:17], v[16:17], v[0:1], -v[24:25]
	v_fma_f64 v[18:19], v[18:19], v[0:1], v[26:27]
	ds_read_b128 v[12:15], v178
	s_waitcnt lgkmcnt(0)
	v_add_f64 v[28:29], v[12:13], v[20:21]
	v_add_f64 v[24:25], v[20:21], v[16:17]
	;; [unrolled: 1-line block ×3, first 2 shown]
	v_add_f64 v[30:31], v[22:23], -v[18:19]
	v_add_f64 v[22:23], v[14:15], v[22:23]
	v_add_f64 v[32:33], v[20:21], -v[16:17]
	v_fma_f64 v[24:25], v[24:25], -0.5, v[12:13]
	v_fma_f64 v[26:27], v[26:27], -0.5, v[14:15]
	v_add_f64 v[12:13], v[28:29], v[16:17]
	v_add_f64 v[14:15], v[22:23], v[18:19]
	v_fma_f64 v[20:21], v[30:31], s[4:5], v[24:25]
	v_fma_f64 v[16:17], v[30:31], s[8:9], v[24:25]
	;; [unrolled: 1-line block ×4, first 2 shown]
	ds_write_b128 v177, v[12:15]
	ds_write_b128 v177, v[20:23] offset:272
	ds_write_b128 v177, v[16:19] offset:544
	s_waitcnt lgkmcnt(0)
	s_barrier
	s_and_saveexec_b64 s[4:5], vcc
	s_cbranch_execz .LBB0_9
; %bb.8:
	global_load_dwordx4 v[24:27], v230, s[6:7] offset:816
	s_add_u32 s8, s6, 0x330
	s_addc_u32 s9, s7, 0
	global_load_dwordx4 v[28:31], v230, s[8:9] offset:48
	global_load_dwordx4 v[32:35], v230, s[8:9] offset:96
	;; [unrolled: 1-line block ×13, first 2 shown]
	ds_read_b128 v[133:136], v177
	ds_read_b128 v[137:140], v177 offset:48
	global_load_dwordx4 v[141:144], v230, s[8:9] offset:672
	ds_read_b128 v[145:148], v177 offset:96
	ds_read_b128 v[149:152], v177 offset:144
	global_load_dwordx4 v[153:156], v230, s[8:9] offset:720
	global_load_dwordx4 v[157:160], v230, s[8:9] offset:768
	ds_read_b128 v[161:164], v177 offset:192
	ds_read_b128 v[165:168], v177 offset:240
	;; [unrolled: 1-line block ×13, first 2 shown]
	s_waitcnt vmcnt(15) lgkmcnt(14)
	v_mul_f64 v[217:218], v[139:140], v[30:31]
	v_mul_f64 v[30:31], v[137:138], v[30:31]
	s_waitcnt vmcnt(14)
	v_mul_f64 v[219:220], v[147:148], v[34:35]
	v_mul_f64 v[34:35], v[145:146], v[34:35]
	s_waitcnt vmcnt(13) lgkmcnt(13)
	v_mul_f64 v[222:223], v[151:152], v[38:39]
	v_mul_f64 v[38:39], v[149:150], v[38:39]
	s_waitcnt vmcnt(12) lgkmcnt(12)
	v_mul_f64 v[224:225], v[163:164], v[42:43]
	v_mul_f64 v[42:43], v[161:162], v[42:43]
	s_waitcnt vmcnt(11) lgkmcnt(11)
	v_mul_f64 v[226:227], v[167:168], v[46:47]
	v_mul_f64 v[215:216], v[135:136], v[26:27]
	;; [unrolled: 1-line block ×4, first 2 shown]
	s_waitcnt vmcnt(10) lgkmcnt(10)
	v_mul_f64 v[237:238], v[171:172], v[50:51]
	v_mul_f64 v[50:51], v[169:170], v[50:51]
	s_waitcnt vmcnt(9) lgkmcnt(9)
	v_mul_f64 v[239:240], v[175:176], v[54:55]
	v_mul_f64 v[54:55], v[173:174], v[54:55]
	;; [unrolled: 3-line block ×4, first 2 shown]
	v_fma_f64 v[131:132], v[133:134], v[24:25], -v[215:216]
	v_fma_f64 v[133:134], v[135:136], v[24:25], v[26:27]
	v_fma_f64 v[24:25], v[137:138], v[28:29], -v[217:218]
	v_fma_f64 v[26:27], v[139:140], v[28:29], v[30:31]
	;; [unrolled: 2-line block ×3, first 2 shown]
	v_mul_f64 v[243:244], v[185:186], v[62:63]
	v_mul_f64 v[62:63], v[183:184], v[62:63]
	v_fma_f64 v[32:33], v[149:150], v[36:37], -v[222:223]
	v_fma_f64 v[34:35], v[151:152], v[36:37], v[38:39]
	v_mul_f64 v[245:246], v[189:190], v[66:67]
	v_mul_f64 v[66:67], v[187:188], v[66:67]
	v_fma_f64 v[36:37], v[161:162], v[40:41], -v[224:225]
	v_fma_f64 v[38:39], v[163:164], v[40:41], v[42:43]
	;; [unrolled: 4-line block ×4, first 2 shown]
	v_fma_f64 v[48:49], v[173:174], v[52:53], -v[239:240]
	v_fma_f64 v[50:51], v[175:176], v[52:53], v[54:55]
	v_fma_f64 v[52:53], v[179:180], v[56:57], -v[241:242]
	v_fma_f64 v[54:55], v[181:182], v[56:57], v[58:59]
	ds_write_b128 v177, v[131:134]
	ds_write_b128 v177, v[24:27] offset:48
	ds_write_b128 v177, v[28:31] offset:96
	ds_write_b128 v177, v[32:35] offset:144
	ds_write_b128 v177, v[36:39] offset:192
	ds_write_b128 v177, v[40:43] offset:240
	ds_write_b128 v177, v[44:47] offset:288
	ds_write_b128 v177, v[48:51] offset:336
	ds_write_b128 v177, v[52:55] offset:384
	s_waitcnt vmcnt(2) lgkmcnt(11)
	v_mul_f64 v[28:29], v[205:206], v[143:144]
	v_mul_f64 v[30:31], v[203:204], v[143:144]
	s_waitcnt vmcnt(1) lgkmcnt(10)
	v_mul_f64 v[32:33], v[209:210], v[155:156]
	v_mul_f64 v[34:35], v[207:208], v[155:156]
	;; [unrolled: 3-line block ×3, first 2 shown]
	v_fma_f64 v[56:57], v[183:184], v[60:61], -v[243:244]
	v_fma_f64 v[58:59], v[185:186], v[60:61], v[62:63]
	v_fma_f64 v[60:61], v[187:188], v[64:65], -v[245:246]
	v_fma_f64 v[62:63], v[189:190], v[64:65], v[66:67]
	;; [unrolled: 2-line block ×8, first 2 shown]
	ds_write_b128 v177, v[56:59] offset:432
	ds_write_b128 v177, v[60:63] offset:480
	;; [unrolled: 1-line block ×8, first 2 shown]
.LBB0_9:
	s_or_b64 exec, exec, s[4:5]
	s_waitcnt lgkmcnt(0)
	s_barrier
	s_and_saveexec_b64 s[4:5], vcc
	s_cbranch_execz .LBB0_11
; %bb.10:
	ds_read_b128 v[12:15], v177
	ds_read_b128 v[20:23], v177 offset:48
	ds_read_b128 v[16:19], v177 offset:96
	;; [unrolled: 1-line block ×16, first 2 shown]
.LBB0_11:
	s_or_b64 exec, exec, s[4:5]
	s_waitcnt lgkmcnt(0)
	s_barrier
	s_and_saveexec_b64 s[4:5], vcc
	s_cbranch_execz .LBB0_13
; %bb.12:
	v_add_f64 v[175:176], v[20:21], -v[4:5]
	s_mov_b32 s14, 0xacd6c6b4
	s_mov_b32 s15, 0xbfc7851a
	v_add_f64 v[173:174], v[16:17], -v[76:77]
	v_add_f64 v[131:132], v[22:23], v[6:7]
	s_mov_b32 s28, 0x5d8e7cdc
	s_mov_b32 s16, 0x7faef3
	;; [unrolled: 1-line block ×3, first 2 shown]
	v_mul_f64 v[24:25], v[175:176], s[14:15]
	s_mov_b32 s17, 0xbfef7484
	v_add_f64 v[139:140], v[72:73], -v[84:85]
	v_mul_f64 v[26:27], v[173:174], s[28:29]
	v_add_f64 v[127:128], v[18:19], v[78:79]
	s_mov_b32 s18, 0x4363dd80
	s_mov_b32 s24, 0x370991
	;; [unrolled: 1-line block ×3, first 2 shown]
	v_fma_f64 v[34:35], v[131:132], s[16:17], v[24:25]
	s_mov_b32 s25, 0x3fedd6d0
	v_add_f64 v[135:136], v[80:81], -v[92:93]
	v_mul_f64 v[36:37], v[139:140], s[18:19]
	v_add_f64 v[129:130], v[74:75], v[86:87]
	v_fma_f64 v[38:39], v[127:128], s[24:25], v[26:27]
	s_mov_b32 s52, 0x2a9d6da3
	s_mov_b32 s20, 0x910ea3b9
	v_add_f64 v[34:35], v[14:15], v[34:35]
	s_mov_b32 s53, 0x3fe58eea
	s_mov_b32 s21, 0xbfeb34fa
	v_add_f64 v[133:134], v[88:89], -v[96:97]
	v_mul_f64 v[40:41], v[135:136], s[52:53]
	v_add_f64 v[125:126], v[82:83], v[94:95]
	v_fma_f64 v[42:43], v[129:130], s[20:21], v[36:37]
	v_add_f64 v[159:160], v[22:23], -v[6:7]
	v_add_f64 v[34:35], v[38:39], v[34:35]
	s_mov_b32 s22, 0x6c9a05f6
	s_mov_b32 s34, 0x75d4884
	;; [unrolled: 1-line block ×4, first 2 shown]
	v_add_f64 v[68:69], v[100:101], -v[104:105]
	v_mul_f64 v[38:39], v[133:134], s[22:23]
	v_add_f64 v[70:71], v[98:99], v[90:91]
	v_fma_f64 v[44:45], v[125:126], s[34:35], v[40:41]
	v_add_f64 v[34:35], v[42:43], v[34:35]
	v_add_f64 v[157:158], v[18:19], -v[78:79]
	v_add_f64 v[155:156], v[20:21], v[4:5]
	v_mul_f64 v[42:43], v[159:160], s[14:15]
	s_mov_b32 s26, 0x7c9e640b
	s_mov_b32 s30, 0x6ed5f1bb
	;; [unrolled: 1-line block ×4, first 2 shown]
	v_add_f64 v[66:67], v[108:109], -v[116:117]
	v_mul_f64 v[32:33], v[68:69], s[26:27]
	v_add_f64 v[137:138], v[106:107], v[102:103]
	v_fma_f64 v[46:47], v[70:71], s[30:31], v[38:39]
	v_add_f64 v[34:35], v[44:45], v[34:35]
	v_add_f64 v[161:162], v[74:75], -v[86:87]
	v_add_f64 v[153:154], v[16:17], v[76:77]
	v_mul_f64 v[44:45], v[157:158], s[28:29]
	v_fma_f64 v[48:49], v[155:156], s[16:17], -v[42:43]
	s_mov_b32 s10, 0x923c349f
	s_mov_b32 s38, 0x2b2883cd
	;; [unrolled: 1-line block ×4, first 2 shown]
	v_mul_f64 v[30:31], v[66:67], s[10:11]
	v_add_f64 v[62:63], v[118:119], v[110:111]
	v_fma_f64 v[50:51], v[137:138], s[38:39], v[32:33]
	v_add_f64 v[34:35], v[46:47], v[34:35]
	v_add_f64 v[163:164], v[82:83], -v[94:95]
	v_add_f64 v[149:150], v[72:73], v[84:85]
	v_mul_f64 v[46:47], v[161:162], s[18:19]
	v_fma_f64 v[52:53], v[153:154], s[24:25], -v[44:45]
	v_add_f64 v[48:49], v[12:13], v[48:49]
	s_mov_b32 s36, 0xc61f0d01
	s_mov_b32 s37, 0xbfd183b1
	v_fma_f64 v[54:55], v[62:63], s[36:37], v[30:31]
	v_add_f64 v[34:35], v[50:51], v[34:35]
	v_add_f64 v[165:166], v[96:97], v[88:89]
	;; [unrolled: 1-line block ×3, first 2 shown]
	v_mul_f64 v[50:51], v[163:164], s[52:53]
	v_fma_f64 v[56:57], v[149:150], s[20:21], -v[46:47]
	v_add_f64 v[48:49], v[52:53], v[48:49]
	v_add_f64 v[167:168], v[104:105], v[100:101]
	v_add_f64 v[151:152], v[90:91], -v[98:99]
	v_add_f64 v[34:35], v[54:55], v[34:35]
	v_mul_f64 v[54:55], v[165:166], s[30:31]
	s_mov_b32 s41, 0x3fe9895b
	v_fma_f64 v[58:59], v[147:148], s[34:35], -v[50:51]
	s_mov_b32 s40, s22
	v_add_f64 v[48:49], v[56:57], v[48:49]
	v_add_f64 v[64:65], v[112:113], -v[120:121]
	v_add_f64 v[171:172], v[116:117], v[108:109]
	v_mul_f64 v[179:180], v[167:168], s[38:39]
	v_add_f64 v[145:146], v[102:103], -v[106:107]
	v_fma_f64 v[181:182], v[151:152], s[40:41], v[54:55]
	v_fma_f64 v[24:25], v[131:132], s[16:17], -v[24:25]
	s_mov_b32 s50, 0xeb564b22
	v_add_f64 v[48:49], v[58:59], v[48:49]
	s_mov_b32 s51, 0x3fefdd0d
	s_mov_b32 s45, 0xbfeca52d
	s_mov_b32 s44, s26
	v_add_f64 v[60:61], v[122:123], v[114:115]
	v_mul_f64 v[28:29], v[64:65], s[50:51]
	v_add_f64 v[169:170], v[120:121], v[112:113]
	v_mul_f64 v[58:59], v[171:172], s[36:37]
	v_add_f64 v[143:144], v[110:111], -v[118:119]
	v_fma_f64 v[183:184], v[145:146], s[44:45], v[179:180]
	v_add_f64 v[48:49], v[181:182], v[48:49]
	v_fma_f64 v[26:27], v[127:128], s[24:25], -v[26:27]
	v_fma_f64 v[42:43], v[155:156], s[16:17], v[42:43]
	v_add_f64 v[24:25], v[14:15], v[24:25]
	s_mov_b32 s8, 0x3259b75e
	s_mov_b32 s9, 0x3fb79ee6
	;; [unrolled: 1-line block ×4, first 2 shown]
	v_fma_f64 v[52:53], v[60:61], s[8:9], v[28:29]
	v_mul_f64 v[56:57], v[169:170], s[8:9]
	v_add_f64 v[141:142], v[114:115], -v[122:123]
	v_fma_f64 v[181:182], v[143:144], s[42:43], v[58:59]
	v_add_f64 v[48:49], v[183:184], v[48:49]
	v_fma_f64 v[36:37], v[129:130], s[20:21], -v[36:37]
	v_fma_f64 v[44:45], v[153:154], s[24:25], v[44:45]
	v_mul_f64 v[185:186], v[175:176], s[18:19]
	v_add_f64 v[42:43], v[12:13], v[42:43]
	v_add_f64 v[24:25], v[26:27], v[24:25]
	s_mov_b32 s47, 0xbfefdd0d
	s_mov_b32 s46, s50
	v_fma_f64 v[183:184], v[141:142], s[46:47], v[56:57]
	v_add_f64 v[48:49], v[181:182], v[48:49]
	v_add_f64 v[26:27], v[52:53], v[34:35]
	v_fma_f64 v[34:35], v[125:126], s[34:35], -v[40:41]
	v_fma_f64 v[40:41], v[149:150], s[20:21], v[46:47]
	v_mul_f64 v[46:47], v[173:174], s[26:27]
	v_fma_f64 v[52:53], v[131:132], s[20:21], v[185:186]
	v_add_f64 v[42:43], v[44:45], v[42:43]
	v_add_f64 v[36:37], v[36:37], v[24:25]
	;; [unrolled: 1-line block ×3, first 2 shown]
	v_fma_f64 v[38:39], v[70:71], s[30:31], -v[38:39]
	v_fma_f64 v[44:45], v[147:148], s[34:35], v[50:51]
	v_mul_f64 v[48:49], v[139:140], s[46:47]
	v_fma_f64 v[50:51], v[127:128], s[38:39], v[46:47]
	v_add_f64 v[52:53], v[14:15], v[52:53]
	v_add_f64 v[40:41], v[40:41], v[42:43]
	;; [unrolled: 1-line block ×3, first 2 shown]
	v_fma_f64 v[32:33], v[137:138], s[38:39], -v[32:33]
	v_fma_f64 v[36:37], v[151:152], s[22:23], v[54:55]
	v_mul_f64 v[42:43], v[135:136], s[40:41]
	v_fma_f64 v[54:55], v[129:130], s[8:9], v[48:49]
	s_mov_b32 s49, 0xbfd71e95
	v_add_f64 v[50:51], v[50:51], v[52:53]
	v_add_f64 v[40:41], v[44:45], v[40:41]
	v_add_f64 v[34:35], v[38:39], v[34:35]
	s_mov_b32 s48, s28
	v_fma_f64 v[30:31], v[62:63], s[36:37], -v[30:31]
	v_fma_f64 v[38:39], v[145:146], s[26:27], v[179:180]
	v_mul_f64 v[44:45], v[133:134], s[48:49]
	v_fma_f64 v[52:53], v[125:126], s[30:31], v[42:43]
	v_add_f64 v[50:51], v[54:55], v[50:51]
	v_add_f64 v[36:37], v[36:37], v[40:41]
	;; [unrolled: 1-line block ×3, first 2 shown]
	v_mul_f64 v[34:35], v[159:160], s[18:19]
	v_fma_f64 v[40:41], v[143:144], s[10:11], v[58:59]
	v_mul_f64 v[54:55], v[68:69], s[14:15]
	v_fma_f64 v[58:59], v[70:71], s[24:25], v[44:45]
	v_fma_f64 v[185:186], v[131:132], s[20:21], -v[185:186]
	v_add_f64 v[50:51], v[52:53], v[50:51]
	v_add_f64 v[36:37], v[38:39], v[36:37]
	;; [unrolled: 1-line block ×3, first 2 shown]
	v_mul_f64 v[32:33], v[157:158], s[26:27]
	v_fma_f64 v[38:39], v[155:156], s[20:21], -v[34:35]
	v_fma_f64 v[179:180], v[137:138], s[16:17], v[54:55]
	v_fma_f64 v[34:35], v[155:156], s[20:21], v[34:35]
	v_fma_f64 v[46:47], v[127:128], s[38:39], -v[46:47]
	v_add_f64 v[50:51], v[58:59], v[50:51]
	v_add_f64 v[36:37], v[40:41], v[36:37]
	v_mul_f64 v[40:41], v[161:162], s[46:47]
	v_fma_f64 v[58:59], v[153:154], s[38:39], -v[32:33]
	v_add_f64 v[38:39], v[12:13], v[38:39]
	v_add_f64 v[185:186], v[14:15], v[185:186]
	v_fma_f64 v[32:33], v[153:154], s[38:39], v[32:33]
	v_add_f64 v[34:35], v[12:13], v[34:35]
	v_add_f64 v[50:51], v[179:180], v[50:51]
	v_mul_f64 v[179:180], v[163:164], s[40:41]
	v_fma_f64 v[187:188], v[149:150], s[8:9], -v[40:41]
	v_mul_f64 v[189:190], v[165:166], s[24:25]
	v_add_f64 v[38:39], v[58:59], v[38:39]
	v_fma_f64 v[48:49], v[129:130], s[8:9], -v[48:49]
	v_add_f64 v[46:47], v[46:47], v[185:186]
	v_fma_f64 v[40:41], v[149:150], s[8:9], v[40:41]
	v_add_f64 v[32:33], v[32:33], v[34:35]
	v_fma_f64 v[191:192], v[147:148], s[30:31], -v[179:180]
	v_mul_f64 v[34:35], v[167:168], s[16:17]
	v_fma_f64 v[185:186], v[151:152], s[28:29], v[189:190]
	v_add_f64 v[38:39], v[187:188], v[38:39]
	v_fma_f64 v[42:43], v[125:126], s[30:31], -v[42:43]
	v_add_f64 v[46:47], v[48:49], v[46:47]
	s_mov_b32 s55, 0x3fc7851a
	s_mov_b32 s54, s14
	v_fma_f64 v[52:53], v[141:142], s[50:51], v[56:57]
	v_mul_f64 v[56:57], v[66:67], s[52:53]
	v_mul_f64 v[187:188], v[171:172], s[34:35]
	v_add_f64 v[38:39], v[191:192], v[38:39]
	v_fma_f64 v[48:49], v[147:148], s[30:31], v[179:180]
	v_add_f64 v[32:33], v[40:41], v[32:33]
	v_fma_f64 v[40:41], v[145:146], s[54:55], v[34:35]
	v_fma_f64 v[44:45], v[70:71], s[24:25], -v[44:45]
	v_add_f64 v[42:43], v[42:43], v[46:47]
	s_mov_b32 s57, 0xbfe58eea
	s_mov_b32 s56, s52
	v_add_f64 v[38:39], v[185:186], v[38:39]
	v_mul_f64 v[181:182], v[64:65], s[10:11]
	v_fma_f64 v[183:184], v[62:63], s[34:35], v[56:57]
	v_fma_f64 v[46:47], v[151:152], s[48:49], v[189:190]
	v_add_f64 v[32:33], v[48:49], v[32:33]
	v_fma_f64 v[48:49], v[143:144], s[56:57], v[187:188]
	v_fma_f64 v[54:55], v[137:138], s[16:17], -v[54:55]
	v_add_f64 v[42:43], v[44:45], v[42:43]
	v_add_f64 v[38:39], v[40:41], v[38:39]
	v_fma_f64 v[28:29], v[60:61], s[8:9], -v[28:29]
	v_fma_f64 v[40:41], v[60:61], s[36:37], v[181:182]
	v_mul_f64 v[58:59], v[169:170], s[36:37]
	v_add_f64 v[32:33], v[46:47], v[32:33]
	v_add_f64 v[46:47], v[183:184], v[50:51]
	v_fma_f64 v[44:45], v[145:146], s[14:15], v[34:35]
	v_add_f64 v[42:43], v[54:55], v[42:43]
	v_add_f64 v[38:39], v[48:49], v[38:39]
	v_fma_f64 v[48:49], v[62:63], s[34:35], -v[56:57]
	v_add_f64 v[34:35], v[28:29], v[30:31]
	v_fma_f64 v[50:51], v[141:142], s[42:43], v[58:59]
	v_mul_f64 v[179:180], v[173:174], s[42:43]
	v_add_f64 v[30:31], v[40:41], v[46:47]
	v_fma_f64 v[46:47], v[141:142], s[10:11], v[58:59]
	v_mul_f64 v[58:59], v[159:160], s[22:23]
	v_mul_f64 v[185:186], v[139:140], s[48:49]
	v_add_f64 v[40:41], v[48:49], v[42:43]
	v_mul_f64 v[48:49], v[175:176], s[22:23]
	v_mul_f64 v[189:190], v[157:158], s[42:43]
	v_fma_f64 v[195:196], v[127:128], s[36:37], v[179:180]
	v_mul_f64 v[56:57], v[135:136], s[18:19]
	v_mul_f64 v[199:200], v[161:162], s[48:49]
	v_fma_f64 v[193:194], v[155:156], s[30:31], -v[58:59]
	v_fma_f64 v[58:59], v[155:156], s[30:31], v[58:59]
	v_fma_f64 v[197:198], v[129:130], s[24:25], v[185:186]
	;; [unrolled: 1-line block ×3, first 2 shown]
	v_fma_f64 v[48:49], v[131:132], s[30:31], -v[48:49]
	v_fma_f64 v[201:202], v[153:154], s[36:37], -v[189:190]
	;; [unrolled: 1-line block ×3, first 2 shown]
	v_fma_f64 v[189:190], v[153:154], s[36:37], v[189:190]
	v_add_f64 v[193:194], v[12:13], v[193:194]
	v_add_f64 v[58:59], v[12:13], v[58:59]
	;; [unrolled: 1-line block ×6, first 2 shown]
	v_mul_f64 v[52:53], v[133:134], s[50:51]
	v_fma_f64 v[191:192], v[125:126], s[20:21], v[56:57]
	v_fma_f64 v[203:204], v[149:150], s[24:25], -v[199:200]
	v_add_f64 v[193:194], v[201:202], v[193:194]
	v_fma_f64 v[185:186], v[129:130], s[24:25], -v[185:186]
	v_add_f64 v[183:184], v[195:196], v[183:184]
	v_mul_f64 v[195:196], v[163:164], s[18:19]
	v_add_f64 v[48:49], v[179:180], v[48:49]
	v_fma_f64 v[199:200], v[149:150], s[24:25], v[199:200]
	v_add_f64 v[58:59], v[189:190], v[58:59]
	v_fma_f64 v[54:55], v[143:144], s[52:53], v[187:188]
	v_mul_f64 v[42:43], v[68:69], s[56:57]
	v_fma_f64 v[187:188], v[70:71], s[8:9], v[52:53]
	v_add_f64 v[179:180], v[197:198], v[183:184]
	v_mul_f64 v[183:184], v[165:166], s[8:9]
	v_fma_f64 v[197:198], v[147:148], s[20:21], -v[195:196]
	v_add_f64 v[189:190], v[203:204], v[193:194]
	v_fma_f64 v[56:57], v[125:126], s[20:21], -v[56:57]
	v_add_f64 v[48:49], v[185:186], v[48:49]
	v_fma_f64 v[193:194], v[147:148], s[20:21], v[195:196]
	v_add_f64 v[58:59], v[199:200], v[58:59]
	v_add_f64 v[179:180], v[191:192], v[179:180]
	;; [unrolled: 1-line block ×3, first 2 shown]
	v_fma_f64 v[36:37], v[60:61], s[36:37], -v[181:182]
	v_mul_f64 v[38:39], v[66:67], s[14:15]
	v_fma_f64 v[181:182], v[137:138], s[34:35], v[42:43]
	v_mul_f64 v[185:186], v[167:168], s[34:35]
	v_fma_f64 v[191:192], v[151:152], s[46:47], v[183:184]
	v_add_f64 v[189:190], v[197:198], v[189:190]
	v_fma_f64 v[52:53], v[70:71], s[8:9], -v[52:53]
	v_add_f64 v[48:49], v[56:57], v[48:49]
	v_add_f64 v[56:57], v[187:188], v[179:180]
	v_fma_f64 v[183:184], v[151:152], s[50:51], v[183:184]
	v_add_f64 v[58:59], v[193:194], v[58:59]
	v_add_f64 v[44:45], v[54:55], v[44:45]
	v_mul_f64 v[50:51], v[64:65], s[26:27]
	v_fma_f64 v[54:55], v[62:63], s[16:17], v[38:39]
	v_mul_f64 v[179:180], v[171:172], s[16:17]
	v_fma_f64 v[187:188], v[145:146], s[52:53], v[185:186]
	v_add_f64 v[189:190], v[191:192], v[189:190]
	v_fma_f64 v[42:43], v[137:138], s[34:35], -v[42:43]
	v_add_f64 v[48:49], v[52:53], v[48:49]
	v_add_f64 v[52:53], v[181:182], v[56:57]
	v_fma_f64 v[185:186], v[145:146], s[56:57], v[185:186]
	v_add_f64 v[58:59], v[183:184], v[58:59]
	v_mul_f64 v[56:57], v[169:170], s[38:39]
	v_fma_f64 v[181:182], v[143:144], s[54:55], v[179:180]
	v_add_f64 v[183:184], v[187:188], v[189:190]
	v_fma_f64 v[38:39], v[62:63], s[16:17], -v[38:39]
	v_add_f64 v[42:43], v[42:43], v[48:49]
	v_fma_f64 v[48:49], v[60:61], s[38:39], v[50:51]
	v_add_f64 v[52:53], v[54:55], v[52:53]
	v_fma_f64 v[179:180], v[143:144], s[14:15], v[179:180]
	;; [unrolled: 2-line block ×3, first 2 shown]
	v_add_f64 v[181:182], v[181:182], v[183:184]
	s_mov_b32 s59, 0x3fe0d888
	v_add_f64 v[183:184], v[38:39], v[42:43]
	v_add_f64 v[42:43], v[36:37], v[40:41]
	;; [unrolled: 1-line block ×4, first 2 shown]
	v_fma_f64 v[44:45], v[141:142], s[26:27], v[56:57]
	v_add_f64 v[48:49], v[179:180], v[58:59]
	v_mul_f64 v[52:53], v[175:176], s[10:11]
	s_mov_b32 s58, s18
	v_add_f64 v[36:37], v[54:55], v[181:182]
	v_mul_f64 v[54:55], v[173:174], s[58:59]
	v_mul_f64 v[187:188], v[157:158], s[58:59]
	;; [unrolled: 1-line block ×4, first 2 shown]
	v_add_f64 v[44:45], v[44:45], v[48:49]
	v_mul_f64 v[48:49], v[159:160], s[10:11]
	v_fma_f64 v[56:57], v[131:132], s[36:37], v[52:53]
	v_fma_f64 v[52:53], v[131:132], s[36:37], -v[52:53]
	v_fma_f64 v[185:186], v[127:128], s[20:21], v[54:55]
	v_fma_f64 v[199:200], v[153:154], s[20:21], -v[187:188]
	v_mul_f64 v[193:194], v[135:136], s[44:45]
	v_fma_f64 v[195:196], v[129:130], s[34:35], v[181:182]
	v_fma_f64 v[54:55], v[127:128], s[20:21], -v[54:55]
	v_fma_f64 v[189:190], v[155:156], s[36:37], -v[48:49]
	v_add_f64 v[56:57], v[14:15], v[56:57]
	v_add_f64 v[52:53], v[14:15], v[52:53]
	v_mul_f64 v[203:204], v[163:164], s[44:45]
	v_fma_f64 v[205:206], v[149:150], s[34:35], -v[197:198]
	v_fma_f64 v[201:202], v[125:126], s[38:39], v[193:194]
	v_fma_f64 v[181:182], v[129:130], s[34:35], -v[181:182]
	v_fma_f64 v[48:49], v[155:156], s[36:37], v[48:49]
	v_add_f64 v[189:190], v[12:13], v[189:190]
	v_add_f64 v[56:57], v[185:186], v[56:57]
	v_mul_f64 v[185:186], v[133:134], s[14:15]
	v_add_f64 v[52:53], v[54:55], v[52:53]
	v_mul_f64 v[54:55], v[165:166], s[16:17]
	v_fma_f64 v[50:51], v[60:61], s[38:39], -v[50:51]
	v_mul_f64 v[58:59], v[68:69], s[50:51]
	v_fma_f64 v[193:194], v[125:126], s[38:39], -v[193:194]
	v_add_f64 v[189:190], v[199:200], v[189:190]
	v_add_f64 v[56:57], v[195:196], v[56:57]
	v_fma_f64 v[199:200], v[147:148], s[38:39], -v[203:204]
	v_fma_f64 v[195:196], v[70:71], s[16:17], v[185:186]
	v_fma_f64 v[187:188], v[153:154], s[20:21], v[187:188]
	v_add_f64 v[48:49], v[12:13], v[48:49]
	v_add_f64 v[52:53], v[181:182], v[52:53]
	v_mul_f64 v[181:182], v[167:168], s[8:9]
	v_add_f64 v[189:190], v[205:206], v[189:190]
	v_add_f64 v[56:57], v[201:202], v[56:57]
	v_fma_f64 v[201:202], v[151:152], s[54:55], v[54:55]
	v_add_f64 v[46:47], v[50:51], v[183:184]
	v_mul_f64 v[50:51], v[66:67], s[48:49]
	v_fma_f64 v[191:192], v[137:138], s[8:9], v[58:59]
	v_fma_f64 v[185:186], v[70:71], s[16:17], -v[185:186]
	v_add_f64 v[48:49], v[187:188], v[48:49]
	v_add_f64 v[189:190], v[199:200], v[189:190]
	;; [unrolled: 1-line block ×3, first 2 shown]
	v_fma_f64 v[195:196], v[149:150], s[34:35], v[197:198]
	v_add_f64 v[52:53], v[193:194], v[52:53]
	v_mul_f64 v[187:188], v[171:172], s[24:25]
	v_fma_f64 v[193:194], v[145:146], s[46:47], v[181:182]
	v_fma_f64 v[183:184], v[62:63], s[24:25], v[50:51]
	v_fma_f64 v[58:59], v[137:138], s[8:9], -v[58:59]
	v_add_f64 v[189:190], v[201:202], v[189:190]
	v_add_f64 v[56:57], v[191:192], v[56:57]
	v_fma_f64 v[191:192], v[147:148], s[38:39], v[203:204]
	v_add_f64 v[48:49], v[195:196], v[48:49]
	v_add_f64 v[52:53], v[185:186], v[52:53]
	v_mul_f64 v[185:186], v[169:170], s[30:31]
	v_fma_f64 v[195:196], v[143:144], s[28:29], v[187:188]
	v_mul_f64 v[179:180], v[64:65], s[22:23]
	v_add_f64 v[189:190], v[193:194], v[189:190]
	v_fma_f64 v[54:55], v[151:152], s[14:15], v[54:55]
	v_add_f64 v[56:57], v[183:184], v[56:57]
	v_add_f64 v[48:49], v[191:192], v[48:49]
	;; [unrolled: 1-line block ×3, first 2 shown]
	v_fma_f64 v[58:59], v[141:142], s[40:41], v[185:186]
	v_fma_f64 v[50:51], v[62:63], s[24:25], -v[50:51]
	v_fma_f64 v[193:194], v[60:61], s[30:31], v[179:180]
	v_add_f64 v[183:184], v[195:196], v[189:190]
	v_mul_f64 v[189:190], v[175:176], s[46:47]
	v_fma_f64 v[179:180], v[60:61], s[30:31], -v[179:180]
	v_add_f64 v[54:55], v[54:55], v[48:49]
	v_fma_f64 v[181:182], v[145:146], s[50:51], v[181:182]
	v_mul_f64 v[191:192], v[157:158], s[14:15]
	v_add_f64 v[52:53], v[50:51], v[52:53]
	v_add_f64 v[50:51], v[193:194], v[56:57]
	;; [unrolled: 1-line block ×3, first 2 shown]
	v_mul_f64 v[58:59], v[159:160], s[46:47]
	v_mul_f64 v[56:57], v[173:174], s[14:15]
	v_fma_f64 v[183:184], v[131:132], s[8:9], v[189:190]
	v_fma_f64 v[187:188], v[143:144], s[48:49], v[187:188]
	v_add_f64 v[181:182], v[181:182], v[54:55]
	v_add_f64 v[54:55], v[179:180], v[52:53]
	v_mul_f64 v[52:53], v[139:140], s[42:43]
	v_mul_f64 v[197:198], v[161:162], s[42:43]
	v_fma_f64 v[193:194], v[155:156], s[8:9], -v[58:59]
	v_fma_f64 v[179:180], v[127:128], s[16:17], v[56:57]
	v_add_f64 v[183:184], v[14:15], v[183:184]
	v_fma_f64 v[199:200], v[153:154], s[16:17], -v[191:192]
	v_add_f64 v[181:182], v[187:188], v[181:182]
	v_mul_f64 v[187:188], v[135:136], s[28:29]
	v_fma_f64 v[195:196], v[129:130], s[36:37], v[52:53]
	v_mul_f64 v[205:206], v[163:164], s[28:29]
	v_add_f64 v[193:194], v[12:13], v[193:194]
	v_fma_f64 v[207:208], v[149:150], s[36:37], -v[197:198]
	v_add_f64 v[179:180], v[179:180], v[183:184]
	v_fma_f64 v[189:190], v[131:132], s[8:9], -v[189:190]
	v_mul_f64 v[201:202], v[133:134], s[44:45]
	v_fma_f64 v[203:204], v[125:126], s[24:25], v[187:188]
	v_mul_f64 v[209:210], v[165:166], s[38:39]
	v_fma_f64 v[211:212], v[147:148], s[24:25], -v[205:206]
	v_add_f64 v[193:194], v[199:200], v[193:194]
	v_fma_f64 v[56:57], v[127:128], s[16:17], -v[56:57]
	v_add_f64 v[179:180], v[195:196], v[179:180]
	v_add_f64 v[189:190], v[14:15], v[189:190]
	v_mul_f64 v[195:196], v[68:69], s[18:19]
	v_fma_f64 v[199:200], v[70:71], s[38:39], v[201:202]
	v_mul_f64 v[213:214], v[167:168], s[20:21]
	v_fma_f64 v[215:216], v[151:152], s[26:27], v[209:210]
	v_add_f64 v[193:194], v[207:208], v[193:194]
	v_fma_f64 v[52:53], v[129:130], s[36:37], -v[52:53]
	v_add_f64 v[179:180], v[203:204], v[179:180]
	v_add_f64 v[56:57], v[56:57], v[189:190]
	v_mul_f64 v[203:204], v[66:67], s[40:41]
	v_fma_f64 v[207:208], v[137:138], s[20:21], v[195:196]
	v_fma_f64 v[187:188], v[125:126], s[24:25], -v[187:188]
	v_fma_f64 v[58:59], v[155:156], s[8:9], v[58:59]
	v_add_f64 v[189:190], v[211:212], v[193:194]
	v_fma_f64 v[211:212], v[145:146], s[58:59], v[213:214]
	v_add_f64 v[179:180], v[199:200], v[179:180]
	v_mul_f64 v[199:200], v[171:172], s[30:31]
	v_add_f64 v[52:53], v[52:53], v[56:57]
	v_mul_f64 v[183:184], v[64:65], s[52:53]
	v_fma_f64 v[193:194], v[62:63], s[30:31], v[203:204]
	v_fma_f64 v[201:202], v[70:71], s[38:39], -v[201:202]
	v_add_f64 v[56:57], v[215:216], v[189:190]
	v_mul_f64 v[189:190], v[169:170], s[34:35]
	v_add_f64 v[179:180], v[207:208], v[179:180]
	v_fma_f64 v[207:208], v[143:144], s[22:23], v[199:200]
	v_fma_f64 v[191:192], v[153:154], s[16:17], v[191:192]
	v_add_f64 v[58:59], v[12:13], v[58:59]
	v_add_f64 v[52:53], v[187:188], v[52:53]
	v_fma_f64 v[185:186], v[141:142], s[22:23], v[185:186]
	v_add_f64 v[56:57], v[211:212], v[56:57]
	v_fma_f64 v[187:188], v[60:61], s[34:35], v[183:184]
	;; [unrolled: 2-line block ×3, first 2 shown]
	v_fma_f64 v[195:196], v[137:138], s[20:21], -v[195:196]
	v_fma_f64 v[197:198], v[149:150], s[36:37], v[197:198]
	v_add_f64 v[191:192], v[191:192], v[58:59]
	v_add_f64 v[201:202], v[201:202], v[52:53]
	;; [unrolled: 1-line block ×5, first 2 shown]
	v_fma_f64 v[179:180], v[62:63], s[30:31], -v[203:204]
	v_fma_f64 v[181:182], v[147:148], s[24:25], v[205:206]
	v_mul_f64 v[185:186], v[175:176], s[44:45]
	v_add_f64 v[187:188], v[197:198], v[191:192]
	v_add_f64 v[191:192], v[195:196], v[201:202]
	;; [unrolled: 1-line block ×3, first 2 shown]
	v_mul_f64 v[193:194], v[159:160], s[44:45]
	v_fma_f64 v[195:196], v[151:152], s[44:45], v[209:210]
	v_mul_f64 v[197:198], v[173:174], s[22:23]
	v_mul_f64 v[205:206], v[139:140], s[54:55]
	v_fma_f64 v[201:202], v[131:132], s[38:39], v[185:186]
	v_add_f64 v[181:182], v[181:182], v[187:188]
	v_add_f64 v[179:180], v[179:180], v[191:192]
	v_mul_f64 v[191:192], v[157:158], s[22:23]
	v_fma_f64 v[203:204], v[155:156], s[38:39], -v[193:194]
	v_fma_f64 v[187:188], v[145:146], s[18:19], v[213:214]
	v_fma_f64 v[207:208], v[127:128], s[30:31], v[197:198]
	v_mul_f64 v[211:212], v[135:136], s[42:43]
	v_add_f64 v[201:202], v[14:15], v[201:202]
	v_add_f64 v[181:182], v[195:196], v[181:182]
	v_fma_f64 v[195:196], v[143:144], s[40:41], v[199:200]
	v_mul_f64 v[199:200], v[161:162], s[54:55]
	v_fma_f64 v[209:210], v[153:154], s[30:31], -v[191:192]
	v_add_f64 v[203:204], v[12:13], v[203:204]
	v_fma_f64 v[213:214], v[129:130], s[16:17], v[205:206]
	v_fma_f64 v[185:186], v[131:132], s[38:39], -v[185:186]
	v_add_f64 v[201:202], v[207:208], v[201:202]
	v_add_f64 v[181:182], v[187:188], v[181:182]
	v_mul_f64 v[187:188], v[163:164], s[42:43]
	v_fma_f64 v[207:208], v[149:150], s[16:17], -v[199:200]
	v_fma_f64 v[215:216], v[125:126], s[36:37], v[211:212]
	v_add_f64 v[203:204], v[209:210], v[203:204]
	v_mul_f64 v[209:210], v[133:134], s[52:53]
	v_fma_f64 v[197:198], v[127:128], s[30:31], -v[197:198]
	v_add_f64 v[201:202], v[213:214], v[201:202]
	v_mul_f64 v[213:214], v[165:166], s[34:35]
	v_fma_f64 v[217:218], v[147:148], s[36:37], -v[187:188]
	v_add_f64 v[185:186], v[14:15], v[185:186]
	v_fma_f64 v[205:206], v[129:130], s[16:17], -v[205:206]
	v_add_f64 v[203:204], v[207:208], v[203:204]
	v_mul_f64 v[207:208], v[68:69], s[48:49]
	v_fma_f64 v[219:220], v[70:71], s[34:35], v[209:210]
	v_add_f64 v[201:202], v[215:216], v[201:202]
	v_mul_f64 v[215:216], v[167:168], s[24:25]
	v_fma_f64 v[222:223], v[151:152], s[56:57], v[213:214]
	v_add_f64 v[185:186], v[197:198], v[185:186]
	v_fma_f64 v[211:212], v[125:126], s[36:37], -v[211:212]
	v_add_f64 v[197:198], v[217:218], v[203:204]
	v_mul_f64 v[203:204], v[66:67], s[46:47]
	v_fma_f64 v[217:218], v[137:138], s[24:25], v[207:208]
	v_add_f64 v[201:202], v[219:220], v[201:202]
	v_mul_f64 v[219:220], v[171:172], s[8:9]
	v_fma_f64 v[224:225], v[145:146], s[28:29], v[215:216]
	;; [unrolled: 8-line block ×3, first 2 shown]
	v_fma_f64 v[209:210], v[70:71], s[34:35], -v[209:210]
	v_add_f64 v[185:186], v[211:212], v[185:186]
	v_add_f64 v[197:198], v[224:225], v[197:198]
	v_fma_f64 v[189:190], v[141:142], s[52:53], v[189:190]
	v_add_f64 v[195:196], v[195:196], v[181:182]
	v_fma_f64 v[211:212], v[60:61], s[20:21], v[205:206]
	;; [unrolled: 2-line block ×3, first 2 shown]
	v_fma_f64 v[207:208], v[137:138], s[24:25], -v[207:208]
	v_add_f64 v[209:210], v[209:210], v[185:186]
	v_add_f64 v[197:198], v[226:227], v[197:198]
	;; [unrolled: 1-line block ×4, first 2 shown]
	v_fma_f64 v[189:190], v[155:156], s[38:39], v[193:194]
	v_add_f64 v[185:186], v[211:212], v[201:202]
	v_fma_f64 v[193:194], v[62:63], s[8:9], -v[203:204]
	v_mul_f64 v[195:196], v[175:176], s[56:57]
	v_add_f64 v[201:202], v[207:208], v[209:210]
	v_add_f64 v[183:184], v[222:223], v[197:198]
	v_fma_f64 v[191:192], v[153:154], s[30:31], v[191:192]
	v_mul_f64 v[197:198], v[159:160], s[56:57]
	v_add_f64 v[189:190], v[12:13], v[189:190]
	v_fma_f64 v[203:204], v[60:61], s[20:21], -v[205:206]
	v_mul_f64 v[205:206], v[173:174], s[46:47]
	v_fma_f64 v[207:208], v[131:132], s[34:35], v[195:196]
	v_add_f64 v[193:194], v[193:194], v[201:202]
	v_fma_f64 v[199:200], v[149:150], s[16:17], v[199:200]
	v_mul_f64 v[201:202], v[157:158], s[46:47]
	v_fma_f64 v[209:210], v[155:156], s[34:35], -v[197:198]
	v_add_f64 v[189:190], v[191:192], v[189:190]
	v_fma_f64 v[187:188], v[147:148], s[36:37], v[187:188]
	v_fma_f64 v[211:212], v[127:128], s[8:9], v[205:206]
	v_add_f64 v[207:208], v[14:15], v[207:208]
	v_mul_f64 v[222:223], v[161:162], s[22:23]
	v_fma_f64 v[195:196], v[131:132], s[34:35], -v[195:196]
	v_fma_f64 v[224:225], v[153:154], s[8:9], -v[201:202]
	v_add_f64 v[209:210], v[12:13], v[209:210]
	v_add_f64 v[189:190], v[199:200], v[189:190]
	v_mul_f64 v[191:192], v[139:140], s[22:23]
	v_fma_f64 v[205:206], v[127:128], s[8:9], -v[205:206]
	v_add_f64 v[207:208], v[211:212], v[207:208]
	v_fma_f64 v[211:212], v[151:152], s[52:53], v[213:214]
	v_mul_f64 v[213:214], v[163:164], s[14:15]
	v_fma_f64 v[237:238], v[149:150], s[30:31], -v[222:223]
	v_add_f64 v[209:210], v[224:225], v[209:210]
	v_add_f64 v[187:188], v[187:188], v[189:190]
	;; [unrolled: 1-line block ×3, first 2 shown]
	v_mul_f64 v[199:200], v[135:136], s[14:15]
	v_fma_f64 v[226:227], v[129:130], s[30:31], v[191:192]
	v_mul_f64 v[224:225], v[133:134], s[58:59]
	v_fma_f64 v[239:240], v[147:148], s[16:17], -v[213:214]
	v_fma_f64 v[197:198], v[155:156], s[34:35], v[197:198]
	v_add_f64 v[209:210], v[237:238], v[209:210]
	v_add_f64 v[187:188], v[211:212], v[187:188]
	v_mul_f64 v[211:212], v[68:69], s[42:43]
	v_fma_f64 v[191:192], v[129:130], s[30:31], -v[191:192]
	v_mul_f64 v[175:176], v[175:176], s[48:49]
	v_add_f64 v[195:196], v[205:206], v[195:196]
	v_fma_f64 v[189:190], v[125:126], s[16:17], v[199:200]
	v_fma_f64 v[237:238], v[70:71], s[20:21], v[224:225]
	v_add_f64 v[209:210], v[239:240], v[209:210]
	v_fma_f64 v[201:202], v[153:154], s[8:9], v[201:202]
	v_fma_f64 v[239:240], v[137:138], s[36:37], v[211:212]
	v_fma_f64 v[205:206], v[137:138], s[36:37], -v[211:212]
	v_fma_f64 v[211:212], v[70:71], s[20:21], -v[224:225]
	v_add_f64 v[197:198], v[12:13], v[197:198]
	v_fma_f64 v[199:200], v[125:126], s[16:17], -v[199:200]
	v_mul_f64 v[173:174], v[173:174], s[56:57]
	v_fma_f64 v[224:225], v[131:132], s[24:25], v[175:176]
	v_add_f64 v[191:192], v[191:192], v[195:196]
	v_add_f64 v[22:23], v[22:23], v[14:15]
	;; [unrolled: 1-line block ×4, first 2 shown]
	v_fma_f64 v[215:216], v[145:146], s[48:49], v[215:216]
	v_mul_f64 v[226:227], v[165:166], s[20:21]
	v_fma_f64 v[195:196], v[149:150], s[30:31], v[222:223]
	v_add_f64 v[197:198], v[201:202], v[197:198]
	v_mul_f64 v[139:140], v[139:140], s[44:45]
	v_fma_f64 v[201:202], v[127:128], s[34:35], v[173:174]
	v_add_f64 v[222:223], v[14:15], v[224:225]
	v_add_f64 v[191:192], v[199:200], v[191:192]
	;; [unrolled: 1-line block ×5, first 2 shown]
	v_fma_f64 v[207:208], v[143:144], s[46:47], v[219:220]
	v_fma_f64 v[241:242], v[151:152], s[18:19], v[226:227]
	v_add_f64 v[187:188], v[215:216], v[187:188]
	v_mul_f64 v[215:216], v[66:67], s[26:27]
	v_add_f64 v[20:21], v[195:196], v[197:198]
	v_mul_f64 v[22:23], v[135:136], s[46:47]
	v_fma_f64 v[135:136], v[129:130], s[38:39], v[139:140]
	v_add_f64 v[195:196], v[201:202], v[222:223]
	v_add_f64 v[191:192], v[211:212], v[191:192]
	;; [unrolled: 1-line block ×7, first 2 shown]
	v_mul_f64 v[207:208], v[64:65], s[28:29]
	v_fma_f64 v[241:242], v[62:63], s[38:39], v[215:216]
	v_fma_f64 v[215:216], v[62:63], s[38:39], -v[215:216]
	v_mul_f64 v[72:73], v[133:134], s[10:11]
	v_add_f64 v[133:134], v[135:136], v[195:196]
	v_add_f64 v[135:136], v[205:206], v[191:192]
	;; [unrolled: 1-line block ×6, first 2 shown]
	v_fma_f64 v[193:194], v[60:61], s[24:25], v[207:208]
	v_fma_f64 v[207:208], v[60:61], s[24:25], -v[207:208]
	v_fma_f64 v[199:200], v[147:148], s[16:17], v[213:214]
	v_add_f64 v[82:83], v[215:216], v[135:136]
	v_add_f64 v[18:19], v[90:91], v[18:19]
	;; [unrolled: 1-line block ×3, first 2 shown]
	v_mul_f64 v[219:220], v[167:168], s[36:37]
	v_fma_f64 v[197:198], v[151:152], s[58:59], v[226:227]
	v_fma_f64 v[131:132], v[131:132], s[24:25], -v[175:176]
	v_mul_f64 v[237:238], v[171:172], s[38:39]
	v_add_f64 v[20:21], v[199:200], v[20:21]
	v_add_f64 v[16:17], v[207:208], v[82:83]
	;; [unrolled: 1-line block ×4, first 2 shown]
	v_mul_f64 v[102:103], v[159:160], s[48:49]
	v_fma_f64 v[74:75], v[125:126], s[8:9], v[22:23]
	v_fma_f64 v[191:192], v[145:146], s[42:43], v[219:220]
	v_mul_f64 v[135:136], v[157:158], s[56:57]
	v_add_f64 v[20:21], v[197:198], v[20:21]
	v_fma_f64 v[127:128], v[127:128], s[34:35], -v[173:174]
	v_add_f64 v[18:19], v[110:111], v[18:19]
	v_add_f64 v[82:83], v[108:109], v[82:83]
	;; [unrolled: 1-line block ×4, first 2 shown]
	v_fma_f64 v[133:134], v[143:144], s[26:27], v[237:238]
	v_fma_f64 v[131:132], v[153:154], s[34:35], v[135:136]
	v_add_f64 v[20:21], v[191:192], v[20:21]
	v_fma_f64 v[22:23], v[125:126], s[8:9], -v[22:23]
	v_add_f64 v[18:19], v[114:115], v[18:19]
	v_add_f64 v[82:83], v[112:113], v[82:83]
	v_fma_f64 v[112:113], v[155:156], s[24:25], v[102:103]
	v_fma_f64 v[102:103], v[155:156], s[24:25], -v[102:103]
	v_mul_f64 v[114:115], v[161:162], s[44:45]
	v_add_f64 v[14:15], v[127:128], v[14:15]
	v_add_f64 v[88:89], v[133:134], v[20:21]
	v_mul_f64 v[133:134], v[163:164], s[46:47]
	v_add_f64 v[18:19], v[122:123], v[18:19]
	v_add_f64 v[82:83], v[120:121], v[82:83]
	;; [unrolled: 1-line block ×3, first 2 shown]
	v_fma_f64 v[120:121], v[153:154], s[34:35], -v[135:136]
	v_add_f64 v[12:13], v[12:13], v[102:103]
	v_fma_f64 v[102:103], v[129:130], s[38:39], -v[139:140]
	v_fma_f64 v[122:123], v[149:150], s[38:39], v[114:115]
	v_fma_f64 v[114:115], v[149:150], s[38:39], -v[114:115]
	v_add_f64 v[18:19], v[118:119], v[18:19]
	v_add_f64 v[82:83], v[116:117], v[82:83]
	;; [unrolled: 1-line block ×3, first 2 shown]
	v_mul_f64 v[110:111], v[165:166], s[36:37]
	v_add_f64 v[12:13], v[120:121], v[12:13]
	v_add_f64 v[14:15], v[102:103], v[14:15]
	v_fma_f64 v[102:103], v[147:148], s[8:9], v[133:134]
	v_mul_f64 v[68:69], v[68:69], s[22:23]
	v_add_f64 v[18:19], v[106:107], v[18:19]
	v_add_f64 v[82:83], v[104:105], v[82:83]
	;; [unrolled: 1-line block ×3, first 2 shown]
	v_fma_f64 v[106:107], v[147:148], s[8:9], -v[133:134]
	v_add_f64 v[12:13], v[114:115], v[12:13]
	v_fma_f64 v[80:81], v[70:71], s[36:37], v[72:73]
	v_fma_f64 v[70:71], v[70:71], s[36:37], -v[72:73]
	v_add_f64 v[14:15], v[22:23], v[14:15]
	v_add_f64 v[18:19], v[98:99], v[18:19]
	;; [unrolled: 1-line block ×3, first 2 shown]
	v_mul_f64 v[108:109], v[167:168], s[30:31]
	v_fma_f64 v[22:23], v[151:152], s[10:11], v[110:111]
	v_add_f64 v[82:83], v[102:103], v[104:105]
	v_fma_f64 v[96:97], v[151:152], s[42:43], v[110:111]
	v_add_f64 v[12:13], v[106:107], v[12:13]
	v_fma_f64 v[90:91], v[137:138], s[30:31], v[68:69]
	v_fma_f64 v[68:69], v[137:138], s[30:31], -v[68:69]
	v_add_f64 v[14:15], v[70:71], v[14:15]
	v_add_f64 v[18:19], v[94:95], v[18:19]
	;; [unrolled: 1-line block ×3, first 2 shown]
	v_mul_f64 v[66:67], v[66:67], s[18:19]
	v_add_f64 v[74:75], v[80:81], v[74:75]
	v_mul_f64 v[100:101], v[171:172], s[20:21]
	v_fma_f64 v[70:71], v[145:146], s[22:23], v[108:109]
	v_add_f64 v[22:23], v[22:23], v[82:83]
	v_fma_f64 v[82:83], v[145:146], s[40:41], v[108:109]
	v_add_f64 v[12:13], v[96:97], v[12:13]
	;; [unrolled: 2-line block ×3, first 2 shown]
	v_add_f64 v[18:19], v[86:87], v[18:19]
	v_add_f64 v[68:69], v[84:85], v[72:73]
	v_mul_f64 v[20:21], v[64:65], s[14:15]
	v_fma_f64 v[64:65], v[62:63], s[20:21], v[66:67]
	v_add_f64 v[74:75], v[90:91], v[74:75]
	v_mul_f64 v[90:91], v[169:170], s[16:17]
	v_fma_f64 v[62:63], v[62:63], s[20:21], -v[66:67]
	v_fma_f64 v[66:67], v[143:144], s[18:19], v[100:101]
	v_add_f64 v[22:23], v[70:71], v[22:23]
	v_mul_f64 v[245:246], v[169:170], s[24:25]
	v_fma_f64 v[70:71], v[143:144], s[58:59], v[100:101]
	v_add_f64 v[12:13], v[82:83], v[12:13]
	v_fma_f64 v[217:218], v[141:142], s[18:19], v[217:218]
	v_fma_f64 v[247:248], v[143:144], s[44:45], v[237:238]
	v_add_f64 v[209:210], v[243:244], v[209:210]
	v_add_f64 v[18:19], v[78:79], v[18:19]
	;; [unrolled: 1-line block ×3, first 2 shown]
	v_fma_f64 v[72:73], v[60:61], s[16:17], -v[20:21]
	v_add_f64 v[14:15], v[62:63], v[14:15]
	v_fma_f64 v[62:63], v[141:142], s[14:15], v[90:91]
	v_add_f64 v[22:23], v[66:67], v[22:23]
	v_fma_f64 v[80:81], v[141:142], s[28:29], v[245:246]
	v_fma_f64 v[66:67], v[60:61], s[16:17], v[20:21]
	v_add_f64 v[64:65], v[64:65], v[74:75]
	v_fma_f64 v[74:75], v[141:142], s[54:55], v[90:91]
	v_add_f64 v[12:13], v[70:71], v[12:13]
	v_add_f64 v[187:188], v[217:218], v[187:188]
	v_add_f64 v[203:204], v[241:242], v[239:240]
	v_fma_f64 v[217:218], v[141:142], s[48:49], v[245:246]
	v_add_f64 v[209:210], v[247:248], v[209:210]
	v_add_f64 v[6:7], v[6:7], v[18:19]
	;; [unrolled: 1-line block ×8, first 2 shown]
	v_lshl_add_u32 v12, v221, 4, v236
	v_add_f64 v[62:63], v[193:194], v[203:204]
	v_add_f64 v[60:61], v[217:218], v[209:210]
	ds_write_b128 v12, v[4:7]
	ds_write_b128 v12, v[18:21] offset:16
	ds_write_b128 v12, v[14:17] offset:32
	;; [unrolled: 1-line block ×16, first 2 shown]
.LBB0_13:
	s_or_b64 exec, exec, s[4:5]
	s_waitcnt lgkmcnt(0)
	s_barrier
	ds_read_b128 v[4:7], v178 offset:272
	ds_read_b128 v[12:15], v178 offset:544
	s_mov_b32 s4, 0xe8584caa
	s_mov_b32 s5, 0xbfebb67a
	;; [unrolled: 1-line block ×3, first 2 shown]
	s_waitcnt lgkmcnt(1)
	v_mul_f64 v[16:17], v[10:11], v[6:7]
	v_mul_f64 v[10:11], v[10:11], v[4:5]
	s_waitcnt lgkmcnt(0)
	v_mul_f64 v[18:19], v[2:3], v[14:15]
	v_mul_f64 v[2:3], v[2:3], v[12:13]
	s_mov_b32 s8, s4
	v_fma_f64 v[4:5], v[8:9], v[4:5], v[16:17]
	v_fma_f64 v[6:7], v[8:9], v[6:7], -v[10:11]
	v_fma_f64 v[8:9], v[0:1], v[12:13], v[18:19]
	v_fma_f64 v[10:11], v[0:1], v[14:15], -v[2:3]
	ds_read_b128 v[0:3], v178
	s_waitcnt lgkmcnt(0)
	v_add_f64 v[16:17], v[0:1], v[4:5]
	v_add_f64 v[12:13], v[4:5], v[8:9]
	;; [unrolled: 1-line block ×3, first 2 shown]
	v_add_f64 v[18:19], v[6:7], -v[10:11]
	v_add_f64 v[6:7], v[2:3], v[6:7]
	v_add_f64 v[20:21], v[4:5], -v[8:9]
	v_fma_f64 v[12:13], v[12:13], -0.5, v[0:1]
	v_fma_f64 v[14:15], v[14:15], -0.5, v[2:3]
	v_add_f64 v[0:1], v[16:17], v[8:9]
	v_add_f64 v[2:3], v[6:7], v[10:11]
	v_fma_f64 v[4:5], v[18:19], s[4:5], v[12:13]
	v_fma_f64 v[6:7], v[20:21], s[8:9], v[14:15]
	;; [unrolled: 1-line block ×4, first 2 shown]
	ds_write_b128 v177, v[0:3]
	ds_write_b128 v177, v[4:7] offset:272
	ds_write_b128 v177, v[8:11] offset:544
	s_waitcnt lgkmcnt(0)
	s_barrier
	s_and_b64 exec, exec, vcc
	s_cbranch_execz .LBB0_15
; %bb.14:
	global_load_dwordx4 v[3:6], v230, s[6:7]
	ds_read_b128 v[7:10], v177
	v_lshl_add_u32 v2, v235, 4, v230
	ds_read_b128 v[11:14], v2 offset:48
	v_mad_u64_u32 v[0:1], s[4:5], s2, v124, 0
	v_mad_u64_u32 v[15:16], s[4:5], s0, v234, 0
	;; [unrolled: 1-line block ×3, first 2 shown]
	s_mul_i32 s5, s1, 48
	s_mul_hi_u32 s8, s0, 48
	v_mov_b32_e32 v1, v19
	v_lshlrev_b64 v[0:1], 4, v[0:1]
	s_mul_i32 s4, s0, 48
	v_add_co_u32_e32 v0, vcc, s12, v0
	s_add_i32 s5, s8, s5
	s_mul_hi_u32 s10, s0, 0x60
	s_waitcnt vmcnt(0) lgkmcnt(1)
	v_mul_f64 v[17:18], v[9:10], v[5:6]
	v_mul_f64 v[5:6], v[7:8], v[5:6]
	v_fma_f64 v[7:8], v[7:8], v[3:4], v[17:18]
	v_fma_f64 v[5:6], v[3:4], v[9:10], -v[5:6]
	v_mad_u64_u32 v[20:21], s[2:3], s1, v234, v[16:17]
	s_mov_b32 s2, 0x14141414
	s_mov_b32 s3, 0x3f941414
	v_mov_b32_e32 v16, v20
	v_mov_b32_e32 v17, s13
	v_mul_f64 v[3:4], v[7:8], s[2:3]
	v_mul_f64 v[5:6], v[5:6], s[2:3]
	v_lshlrev_b64 v[9:10], 4, v[15:16]
	v_addc_co_u32_e32 v1, vcc, v17, v1, vcc
	v_add_co_u32_e32 v7, vcc, v0, v9
	v_addc_co_u32_e32 v8, vcc, v1, v10, vcc
	global_store_dwordx4 v[7:8], v[3:6], off
	global_load_dwordx4 v[3:6], v230, s[6:7] offset:48
	v_add_co_u32_e32 v15, vcc, s4, v7
	v_mad_u64_u32 v[19:20], s[8:9], s0, v233, 0
	s_waitcnt vmcnt(0) lgkmcnt(0)
	v_mul_f64 v[9:10], v[13:14], v[5:6]
	v_mul_f64 v[5:6], v[11:12], v[5:6]
	v_fma_f64 v[9:10], v[11:12], v[3:4], v[9:10]
	v_fma_f64 v[5:6], v[3:4], v[13:14], -v[5:6]
	v_mul_f64 v[3:4], v[9:10], s[2:3]
	v_mul_f64 v[5:6], v[5:6], s[2:3]
	v_mov_b32_e32 v9, s5
	v_addc_co_u32_e32 v16, vcc, v8, v9, vcc
	global_store_dwordx4 v[15:16], v[3:6], off
	global_load_dwordx4 v[3:6], v230, s[6:7] offset:96
	ds_read_b128 v[7:10], v2 offset:96
	ds_read_b128 v[11:14], v2 offset:144
	s_waitcnt vmcnt(0) lgkmcnt(1)
	v_mul_f64 v[17:18], v[9:10], v[5:6]
	v_mul_f64 v[5:6], v[7:8], v[5:6]
	v_fma_f64 v[7:8], v[7:8], v[3:4], v[17:18]
	v_fma_f64 v[5:6], v[3:4], v[9:10], -v[5:6]
	v_mul_f64 v[3:4], v[7:8], s[2:3]
	v_mul_f64 v[5:6], v[5:6], s[2:3]
	v_mov_b32_e32 v8, s5
	v_add_co_u32_e32 v7, vcc, s4, v15
	v_addc_co_u32_e32 v8, vcc, v16, v8, vcc
	v_add_co_u32_e32 v15, vcc, s4, v7
	global_store_dwordx4 v[7:8], v[3:6], off
	global_load_dwordx4 v[3:6], v230, s[6:7] offset:144
	s_waitcnt vmcnt(0) lgkmcnt(0)
	v_mul_f64 v[9:10], v[13:14], v[5:6]
	v_mul_f64 v[5:6], v[11:12], v[5:6]
	v_fma_f64 v[9:10], v[11:12], v[3:4], v[9:10]
	v_fma_f64 v[5:6], v[3:4], v[13:14], -v[5:6]
	v_mul_f64 v[3:4], v[9:10], s[2:3]
	v_mul_f64 v[5:6], v[5:6], s[2:3]
	v_mov_b32_e32 v9, s5
	v_addc_co_u32_e32 v16, vcc, v8, v9, vcc
	global_store_dwordx4 v[15:16], v[3:6], off
	global_load_dwordx4 v[3:6], v230, s[6:7] offset:192
	ds_read_b128 v[7:10], v2 offset:192
	ds_read_b128 v[11:14], v2 offset:240
	s_waitcnt vmcnt(0) lgkmcnt(1)
	v_mul_f64 v[17:18], v[9:10], v[5:6]
	v_mul_f64 v[5:6], v[7:8], v[5:6]
	v_fma_f64 v[7:8], v[7:8], v[3:4], v[17:18]
	v_fma_f64 v[5:6], v[3:4], v[9:10], -v[5:6]
	v_mov_b32_e32 v3, v20
	v_mad_u64_u32 v[9:10], s[8:9], s1, v233, v[3:4]
	s_mul_i32 s9, s1, 0x60
	s_mul_i32 s8, s0, 0x60
	v_mov_b32_e32 v20, v9
	v_mul_f64 v[3:4], v[7:8], s[2:3]
	v_mul_f64 v[5:6], v[5:6], s[2:3]
	v_lshlrev_b64 v[7:8], 4, v[19:20]
	s_add_i32 s9, s10, s9
	v_add_co_u32_e32 v7, vcc, v0, v7
	v_addc_co_u32_e32 v8, vcc, v1, v8, vcc
	v_add_co_u32_e32 v15, vcc, s8, v15
	global_store_dwordx4 v[7:8], v[3:6], off
	global_load_dwordx4 v[3:6], v230, s[6:7] offset:240
	v_mad_u64_u32 v[19:20], s[10:11], s0, v232, 0
	s_waitcnt vmcnt(0) lgkmcnt(0)
	v_mul_f64 v[7:8], v[13:14], v[5:6]
	v_mul_f64 v[5:6], v[11:12], v[5:6]
	v_fma_f64 v[7:8], v[11:12], v[3:4], v[7:8]
	v_fma_f64 v[5:6], v[3:4], v[13:14], -v[5:6]
	v_mul_f64 v[3:4], v[7:8], s[2:3]
	v_mul_f64 v[5:6], v[5:6], s[2:3]
	v_mov_b32_e32 v7, s9
	v_addc_co_u32_e32 v16, vcc, v16, v7, vcc
	global_store_dwordx4 v[15:16], v[3:6], off
	global_load_dwordx4 v[3:6], v230, s[6:7] offset:288
	ds_read_b128 v[7:10], v2 offset:288
	ds_read_b128 v[11:14], v2 offset:336
	s_waitcnt vmcnt(0) lgkmcnt(1)
	v_mul_f64 v[17:18], v[9:10], v[5:6]
	v_mul_f64 v[5:6], v[7:8], v[5:6]
	v_fma_f64 v[7:8], v[7:8], v[3:4], v[17:18]
	v_fma_f64 v[5:6], v[3:4], v[9:10], -v[5:6]
	v_mul_f64 v[3:4], v[7:8], s[2:3]
	v_mul_f64 v[5:6], v[5:6], s[2:3]
	v_mov_b32_e32 v8, s5
	v_add_co_u32_e32 v7, vcc, s4, v15
	v_addc_co_u32_e32 v8, vcc, v16, v8, vcc
	v_add_co_u32_e32 v15, vcc, s4, v7
	global_store_dwordx4 v[7:8], v[3:6], off
	global_load_dwordx4 v[3:6], v230, s[6:7] offset:336
	s_waitcnt vmcnt(0) lgkmcnt(0)
	v_mul_f64 v[9:10], v[13:14], v[5:6]
	v_mul_f64 v[5:6], v[11:12], v[5:6]
	v_fma_f64 v[9:10], v[11:12], v[3:4], v[9:10]
	v_fma_f64 v[5:6], v[3:4], v[13:14], -v[5:6]
	v_mul_f64 v[3:4], v[9:10], s[2:3]
	v_mul_f64 v[5:6], v[5:6], s[2:3]
	v_mov_b32_e32 v9, s5
	v_addc_co_u32_e32 v16, vcc, v8, v9, vcc
	global_store_dwordx4 v[15:16], v[3:6], off
	global_load_dwordx4 v[3:6], v230, s[6:7] offset:384
	ds_read_b128 v[7:10], v2 offset:384
	ds_read_b128 v[11:14], v2 offset:432
	s_waitcnt vmcnt(0) lgkmcnt(1)
	v_mul_f64 v[17:18], v[9:10], v[5:6]
	v_mul_f64 v[5:6], v[7:8], v[5:6]
	v_fma_f64 v[7:8], v[7:8], v[3:4], v[17:18]
	v_fma_f64 v[5:6], v[3:4], v[9:10], -v[5:6]
	v_mov_b32_e32 v3, v20
	v_mad_u64_u32 v[9:10], s[10:11], s1, v232, v[3:4]
	v_mov_b32_e32 v20, v9
	v_mul_f64 v[3:4], v[7:8], s[2:3]
	v_mul_f64 v[5:6], v[5:6], s[2:3]
	v_lshlrev_b64 v[7:8], 4, v[19:20]
	v_mad_u64_u32 v[19:20], s[10:11], s0, v231, 0
	v_add_co_u32_e32 v7, vcc, v0, v7
	v_addc_co_u32_e32 v8, vcc, v1, v8, vcc
	global_store_dwordx4 v[7:8], v[3:6], off
	global_load_dwordx4 v[3:6], v230, s[6:7] offset:432
	v_add_co_u32_e32 v15, vcc, s8, v15
	s_waitcnt vmcnt(0) lgkmcnt(0)
	v_mul_f64 v[7:8], v[13:14], v[5:6]
	v_mul_f64 v[5:6], v[11:12], v[5:6]
	v_fma_f64 v[7:8], v[11:12], v[3:4], v[7:8]
	v_fma_f64 v[5:6], v[3:4], v[13:14], -v[5:6]
	v_mul_f64 v[3:4], v[7:8], s[2:3]
	v_mul_f64 v[5:6], v[5:6], s[2:3]
	v_mov_b32_e32 v7, s9
	v_addc_co_u32_e32 v16, vcc, v16, v7, vcc
	global_store_dwordx4 v[15:16], v[3:6], off
	global_load_dwordx4 v[3:6], v230, s[6:7] offset:480
	ds_read_b128 v[7:10], v2 offset:480
	ds_read_b128 v[11:14], v2 offset:528
	s_waitcnt vmcnt(0) lgkmcnt(1)
	v_mul_f64 v[17:18], v[9:10], v[5:6]
	v_mul_f64 v[5:6], v[7:8], v[5:6]
	v_fma_f64 v[7:8], v[7:8], v[3:4], v[17:18]
	v_fma_f64 v[5:6], v[3:4], v[9:10], -v[5:6]
	v_mul_f64 v[3:4], v[7:8], s[2:3]
	v_mul_f64 v[5:6], v[5:6], s[2:3]
	v_mov_b32_e32 v8, s5
	v_add_co_u32_e32 v7, vcc, s4, v15
	v_addc_co_u32_e32 v8, vcc, v16, v8, vcc
	v_add_co_u32_e32 v15, vcc, s4, v7
	global_store_dwordx4 v[7:8], v[3:6], off
	global_load_dwordx4 v[3:6], v230, s[6:7] offset:528
	s_waitcnt vmcnt(0) lgkmcnt(0)
	v_mul_f64 v[9:10], v[13:14], v[5:6]
	v_mul_f64 v[5:6], v[11:12], v[5:6]
	v_fma_f64 v[9:10], v[11:12], v[3:4], v[9:10]
	v_fma_f64 v[5:6], v[3:4], v[13:14], -v[5:6]
	v_mul_f64 v[3:4], v[9:10], s[2:3]
	v_mul_f64 v[5:6], v[5:6], s[2:3]
	v_mov_b32_e32 v9, s5
	v_addc_co_u32_e32 v16, vcc, v8, v9, vcc
	global_store_dwordx4 v[15:16], v[3:6], off
	global_load_dwordx4 v[3:6], v230, s[6:7] offset:576
	ds_read_b128 v[7:10], v2 offset:576
	ds_read_b128 v[11:14], v2 offset:624
	s_waitcnt vmcnt(0) lgkmcnt(1)
	v_mul_f64 v[17:18], v[9:10], v[5:6]
	v_mul_f64 v[5:6], v[7:8], v[5:6]
	v_fma_f64 v[7:8], v[7:8], v[3:4], v[17:18]
	v_fma_f64 v[5:6], v[3:4], v[9:10], -v[5:6]
	v_mov_b32_e32 v3, v20
	v_mad_u64_u32 v[9:10], s[10:11], s1, v231, v[3:4]
	v_mov_b32_e32 v20, v9
	v_mul_f64 v[3:4], v[7:8], s[2:3]
	v_mul_f64 v[5:6], v[5:6], s[2:3]
	v_lshlrev_b64 v[7:8], 4, v[19:20]
	v_add_co_u32_e32 v7, vcc, v0, v7
	v_addc_co_u32_e32 v8, vcc, v1, v8, vcc
	v_add_co_u32_e32 v15, vcc, s8, v15
	global_store_dwordx4 v[7:8], v[3:6], off
	global_load_dwordx4 v[3:6], v230, s[6:7] offset:624
	s_waitcnt vmcnt(0) lgkmcnt(0)
	v_mul_f64 v[7:8], v[13:14], v[5:6]
	v_mul_f64 v[5:6], v[11:12], v[5:6]
	v_fma_f64 v[7:8], v[11:12], v[3:4], v[7:8]
	v_fma_f64 v[5:6], v[3:4], v[13:14], -v[5:6]
	v_mul_f64 v[3:4], v[7:8], s[2:3]
	v_mul_f64 v[5:6], v[5:6], s[2:3]
	v_mov_b32_e32 v7, s9
	v_addc_co_u32_e32 v16, vcc, v16, v7, vcc
	global_store_dwordx4 v[15:16], v[3:6], off
	global_load_dwordx4 v[3:6], v230, s[6:7] offset:672
	ds_read_b128 v[7:10], v2 offset:672
	ds_read_b128 v[11:14], v2 offset:720
	s_waitcnt vmcnt(0) lgkmcnt(1)
	v_mul_f64 v[17:18], v[9:10], v[5:6]
	v_mul_f64 v[5:6], v[7:8], v[5:6]
	v_fma_f64 v[7:8], v[7:8], v[3:4], v[17:18]
	v_fma_f64 v[5:6], v[3:4], v[9:10], -v[5:6]
	v_mul_f64 v[3:4], v[7:8], s[2:3]
	v_mul_f64 v[5:6], v[5:6], s[2:3]
	v_mov_b32_e32 v8, s5
	v_add_co_u32_e32 v7, vcc, s4, v15
	v_addc_co_u32_e32 v8, vcc, v16, v8, vcc
	global_store_dwordx4 v[7:8], v[3:6], off
	global_load_dwordx4 v[3:6], v230, s[6:7] offset:720
	v_add_co_u32_e32 v7, vcc, s4, v7
	s_waitcnt vmcnt(0) lgkmcnt(0)
	v_mul_f64 v[9:10], v[13:14], v[5:6]
	v_mul_f64 v[5:6], v[11:12], v[5:6]
	v_fma_f64 v[9:10], v[11:12], v[3:4], v[9:10]
	v_fma_f64 v[5:6], v[3:4], v[13:14], -v[5:6]
	v_mul_f64 v[3:4], v[9:10], s[2:3]
	v_mul_f64 v[5:6], v[5:6], s[2:3]
	v_mov_b32_e32 v9, s5
	v_addc_co_u32_e32 v8, vcc, v8, v9, vcc
	global_store_dwordx4 v[7:8], v[3:6], off
	global_load_dwordx4 v[3:6], v230, s[6:7] offset:768
	ds_read_b128 v[7:10], v2 offset:768
	s_waitcnt vmcnt(0) lgkmcnt(0)
	v_mul_f64 v[11:12], v[9:10], v[5:6]
	v_mul_f64 v[5:6], v[7:8], v[5:6]
	v_fma_f64 v[7:8], v[7:8], v[3:4], v[11:12]
	v_fma_f64 v[4:5], v[3:4], v[9:10], -v[5:6]
	v_mad_u64_u32 v[9:10], s[4:5], s0, v229, 0
	v_mov_b32_e32 v2, v10
	v_mad_u64_u32 v[10:11], s[0:1], s1, v229, v[2:3]
	v_mul_f64 v[2:3], v[7:8], s[2:3]
	v_mul_f64 v[4:5], v[4:5], s[2:3]
	v_lshlrev_b64 v[6:7], 4, v[9:10]
	v_add_co_u32_e32 v0, vcc, v0, v6
	v_addc_co_u32_e32 v1, vcc, v1, v7, vcc
	global_store_dwordx4 v[0:1], v[2:5], off
.LBB0_15:
	s_endpgm
	.section	.rodata,"a",@progbits
	.p2align	6, 0x0
	.amdhsa_kernel bluestein_single_fwd_len51_dim1_dp_op_CI_CI
		.amdhsa_group_segment_fixed_size 12240
		.amdhsa_private_segment_fixed_size 0
		.amdhsa_kernarg_size 104
		.amdhsa_user_sgpr_count 6
		.amdhsa_user_sgpr_private_segment_buffer 1
		.amdhsa_user_sgpr_dispatch_ptr 0
		.amdhsa_user_sgpr_queue_ptr 0
		.amdhsa_user_sgpr_kernarg_segment_ptr 1
		.amdhsa_user_sgpr_dispatch_id 0
		.amdhsa_user_sgpr_flat_scratch_init 0
		.amdhsa_user_sgpr_private_segment_size 0
		.amdhsa_uses_dynamic_stack 0
		.amdhsa_system_sgpr_private_segment_wavefront_offset 0
		.amdhsa_system_sgpr_workgroup_id_x 1
		.amdhsa_system_sgpr_workgroup_id_y 0
		.amdhsa_system_sgpr_workgroup_id_z 0
		.amdhsa_system_sgpr_workgroup_info 0
		.amdhsa_system_vgpr_workitem_id 0
		.amdhsa_next_free_vgpr 255
		.amdhsa_next_free_sgpr 60
		.amdhsa_reserve_vcc 1
		.amdhsa_reserve_flat_scratch 0
		.amdhsa_float_round_mode_32 0
		.amdhsa_float_round_mode_16_64 0
		.amdhsa_float_denorm_mode_32 3
		.amdhsa_float_denorm_mode_16_64 3
		.amdhsa_dx10_clamp 1
		.amdhsa_ieee_mode 1
		.amdhsa_fp16_overflow 0
		.amdhsa_exception_fp_ieee_invalid_op 0
		.amdhsa_exception_fp_denorm_src 0
		.amdhsa_exception_fp_ieee_div_zero 0
		.amdhsa_exception_fp_ieee_overflow 0
		.amdhsa_exception_fp_ieee_underflow 0
		.amdhsa_exception_fp_ieee_inexact 0
		.amdhsa_exception_int_div_zero 0
	.end_amdhsa_kernel
	.text
.Lfunc_end0:
	.size	bluestein_single_fwd_len51_dim1_dp_op_CI_CI, .Lfunc_end0-bluestein_single_fwd_len51_dim1_dp_op_CI_CI
                                        ; -- End function
	.section	.AMDGPU.csdata,"",@progbits
; Kernel info:
; codeLenInByte = 18032
; NumSgprs: 64
; NumVgprs: 255
; ScratchSize: 0
; MemoryBound: 0
; FloatMode: 240
; IeeeMode: 1
; LDSByteSize: 12240 bytes/workgroup (compile time only)
; SGPRBlocks: 7
; VGPRBlocks: 63
; NumSGPRsForWavesPerEU: 64
; NumVGPRsForWavesPerEU: 255
; Occupancy: 1
; WaveLimiterHint : 1
; COMPUTE_PGM_RSRC2:SCRATCH_EN: 0
; COMPUTE_PGM_RSRC2:USER_SGPR: 6
; COMPUTE_PGM_RSRC2:TRAP_HANDLER: 0
; COMPUTE_PGM_RSRC2:TGID_X_EN: 1
; COMPUTE_PGM_RSRC2:TGID_Y_EN: 0
; COMPUTE_PGM_RSRC2:TGID_Z_EN: 0
; COMPUTE_PGM_RSRC2:TIDIG_COMP_CNT: 0
	.type	__hip_cuid_f56c37358b2dc13d,@object ; @__hip_cuid_f56c37358b2dc13d
	.section	.bss,"aw",@nobits
	.globl	__hip_cuid_f56c37358b2dc13d
__hip_cuid_f56c37358b2dc13d:
	.byte	0                               ; 0x0
	.size	__hip_cuid_f56c37358b2dc13d, 1

	.ident	"AMD clang version 19.0.0git (https://github.com/RadeonOpenCompute/llvm-project roc-6.4.0 25133 c7fe45cf4b819c5991fe208aaa96edf142730f1d)"
	.section	".note.GNU-stack","",@progbits
	.addrsig
	.addrsig_sym __hip_cuid_f56c37358b2dc13d
	.amdgpu_metadata
---
amdhsa.kernels:
  - .args:
      - .actual_access:  read_only
        .address_space:  global
        .offset:         0
        .size:           8
        .value_kind:     global_buffer
      - .actual_access:  read_only
        .address_space:  global
        .offset:         8
        .size:           8
        .value_kind:     global_buffer
      - .actual_access:  read_only
        .address_space:  global
        .offset:         16
        .size:           8
        .value_kind:     global_buffer
      - .actual_access:  read_only
        .address_space:  global
        .offset:         24
        .size:           8
        .value_kind:     global_buffer
      - .actual_access:  read_only
        .address_space:  global
        .offset:         32
        .size:           8
        .value_kind:     global_buffer
      - .offset:         40
        .size:           8
        .value_kind:     by_value
      - .address_space:  global
        .offset:         48
        .size:           8
        .value_kind:     global_buffer
      - .address_space:  global
        .offset:         56
        .size:           8
        .value_kind:     global_buffer
      - .address_space:  global
        .offset:         64
        .size:           8
        .value_kind:     global_buffer
      - .address_space:  global
        .offset:         72
        .size:           8
        .value_kind:     global_buffer
      - .offset:         80
        .size:           4
        .value_kind:     by_value
      - .address_space:  global
        .offset:         88
        .size:           8
        .value_kind:     global_buffer
      - .address_space:  global
        .offset:         96
        .size:           8
        .value_kind:     global_buffer
    .group_segment_fixed_size: 12240
    .kernarg_segment_align: 8
    .kernarg_segment_size: 104
    .language:       OpenCL C
    .language_version:
      - 2
      - 0
    .max_flat_workgroup_size: 255
    .name:           bluestein_single_fwd_len51_dim1_dp_op_CI_CI
    .private_segment_fixed_size: 0
    .sgpr_count:     64
    .sgpr_spill_count: 0
    .symbol:         bluestein_single_fwd_len51_dim1_dp_op_CI_CI.kd
    .uniform_work_group_size: 1
    .uses_dynamic_stack: false
    .vgpr_count:     255
    .vgpr_spill_count: 0
    .wavefront_size: 64
amdhsa.target:   amdgcn-amd-amdhsa--gfx906
amdhsa.version:
  - 1
  - 2
...

	.end_amdgpu_metadata
